;; amdgpu-corpus repo=ROCm/Tensile kind=harvested arch=n/a opt=n/a

/******************************************/
/* Function Prefix                        */
/******************************************/



/******************************************/
/* Begin Kernel                           */
/******************************************/

// Component.Signature.SignatureDefault
.amdgcn_target "amdgcn-amd-amdhsa--gfx942"
.text
.protected Cijk_Ailk_Bjlk_HHS_BH_MT256x256x64_MI16x16x16x1_SN_1LDSB1_APM1_AF0EM8_AF1EM8_AMAS3_ASE_ASGT_ASLT_ASM_ASAE01_ASCE01_ASEM1_BL1_BS1_CLR1_DTVA0_DTVB0_ETSP_EPS1_ELFLR8_EMLL0_FSSC10_FL0_GLVWA8_GLVWB8_GRCGA1_GRPM1_GRVW8_GSU1_GSUASB_GLS0_IU1_K1_LBSPPA0_LBSPPB0_LPA0_LPB0_LRVW4_LWPMn1_MIAV0_MKFGSU256_NTA0_NTB0_NTC3_NTD3_NEPBS0_NLCA1_NLCB1_ONLL1_PGR2_PLR5_PKA0_SIA3_SLW1_SS1_SU0_SUM0_SUS0_SPO1_SRVW0_SSO0_SVW4_TSGRA0_TSGRB0_TT8_128_TLDS0_UMLDSA0_UMLDSB0_USFGROn1_VAW1_VSn1_VW4_VWB4_VFLRP1_WSGRA1_WSGRB1_WG32_8_1_WGM30
.globl Cijk_Ailk_Bjlk_HHS_BH_MT256x256x64_MI16x16x16x1_SN_1LDSB1_APM1_AF0EM8_AF1EM8_AMAS3_ASE_ASGT_ASLT_ASM_ASAE01_ASCE01_ASEM1_BL1_BS1_CLR1_DTVA0_DTVB0_ETSP_EPS1_ELFLR8_EMLL0_FSSC10_FL0_GLVWA8_GLVWB8_GRCGA1_GRPM1_GRVW8_GSU1_GSUASB_GLS0_IU1_K1_LBSPPA0_LBSPPB0_LPA0_LPB0_LRVW4_LWPMn1_MIAV0_MKFGSU256_NTA0_NTB0_NTC3_NTD3_NEPBS0_NLCA1_NLCB1_ONLL1_PGR2_PLR5_PKA0_SIA3_SLW1_SS1_SU0_SUM0_SUS0_SPO1_SRVW0_SSO0_SVW4_TSGRA0_TSGRB0_TT8_128_TLDS0_UMLDSA0_UMLDSB0_USFGROn1_VAW1_VSn1_VW4_VWB4_VFLRP1_WSGRA1_WSGRB1_WG32_8_1_WGM30
.p2align 8
.type Cijk_Ailk_Bjlk_HHS_BH_MT256x256x64_MI16x16x16x1_SN_1LDSB1_APM1_AF0EM8_AF1EM8_AMAS3_ASE_ASGT_ASLT_ASM_ASAE01_ASCE01_ASEM1_BL1_BS1_CLR1_DTVA0_DTVB0_ETSP_EPS1_ELFLR8_EMLL0_FSSC10_FL0_GLVWA8_GLVWB8_GRCGA1_GRPM1_GRVW8_GSU1_GSUASB_GLS0_IU1_K1_LBSPPA0_LBSPPB0_LPA0_LPB0_LRVW4_LWPMn1_MIAV0_MKFGSU256_NTA0_NTB0_NTC3_NTD3_NEPBS0_NLCA1_NLCB1_ONLL1_PGR2_PLR5_PKA0_SIA3_SLW1_SS1_SU0_SUM0_SUS0_SPO1_SRVW0_SSO0_SVW4_TSGRA0_TSGRB0_TT8_128_TLDS0_UMLDSA0_UMLDSB0_USFGROn1_VAW1_VSn1_VW4_VWB4_VFLRP1_WSGRA1_WSGRB1_WG32_8_1_WGM30,@function
.section .rodata,#alloc
.p2align 6
.amdhsa_kernel Cijk_Ailk_Bjlk_HHS_BH_MT256x256x64_MI16x16x16x1_SN_1LDSB1_APM1_AF0EM8_AF1EM8_AMAS3_ASE_ASGT_ASLT_ASM_ASAE01_ASCE01_ASEM1_BL1_BS1_CLR1_DTVA0_DTVB0_ETSP_EPS1_ELFLR8_EMLL0_FSSC10_FL0_GLVWA8_GLVWB8_GRCGA1_GRPM1_GRVW8_GSU1_GSUASB_GLS0_IU1_K1_LBSPPA0_LBSPPB0_LPA0_LPB0_LRVW4_LWPMn1_MIAV0_MKFGSU256_NTA0_NTB0_NTC3_NTD3_NEPBS0_NLCA1_NLCB1_ONLL1_PGR2_PLR5_PKA0_SIA3_SLW1_SS1_SU0_SUM0_SUS0_SPO1_SRVW0_SSO0_SVW4_TSGRA0_TSGRB0_TT8_128_TLDS0_UMLDSA0_UMLDSB0_USFGROn1_VAW1_VSn1_VW4_VWB4_VFLRP1_WSGRA1_WSGRB1_WG32_8_1_WGM30
  .amdhsa_user_sgpr_kernarg_segment_ptr 1
  .amdhsa_user_sgpr_kernarg_preload_offset 0
  .amdhsa_user_sgpr_kernarg_preload_length 0
  .amdhsa_user_sgpr_count 2
  .amdhsa_accum_offset 256 // accvgpr offset
  .amdhsa_next_free_vgpr 512 // vgprs
  .amdhsa_next_free_sgpr 76 // sgprs
  .amdhsa_group_segment_fixed_size 65536 // lds bytes
  .amdhsa_private_segment_fixed_size 0
  .amdhsa_system_sgpr_workgroup_id_x 1
  .amdhsa_system_sgpr_workgroup_id_y 1
  .amdhsa_system_sgpr_workgroup_id_z 1
  .amdhsa_system_vgpr_workitem_id 0
  .amdhsa_float_denorm_mode_32 3
  .amdhsa_float_denorm_mode_16_64 3
.end_amdhsa_kernel
.text

/******************************************/
/* Optimizations and Config:              */
/******************************************/
/* ThreadTile= 32 x 8 */
/* SubGroup= 8 x 32 */
/* VectorWidthA=4 */
/* VectorWidthB=4 */
/* GlobalLoadVectorWidthA=8, GlobalLoadVectorWidthB=8 */
/* DirectToLdsA=False */
/* DirectToLdsB=False */
/* UseSgprForGRO=1 */
.amdgpu_metadata
---
amdhsa.version:
  - 1
  - 1
amdhsa.target: amdgcn-amd-amdhsa--gfx942
amdhsa.kernels:
  - .name: Cijk_Ailk_Bjlk_HHS_BH_MT256x256x64_MI16x16x16x1_SN_1LDSB1_APM1_AF0EM8_AF1EM8_AMAS3_ASE_ASGT_ASLT_ASM_ASAE01_ASCE01_ASEM1_BL1_BS1_CLR1_DTVA0_DTVB0_ETSP_EPS1_ELFLR8_EMLL0_FSSC10_FL0_GLVWA8_GLVWB8_GRCGA1_GRPM1_GRVW8_GSU1_GSUASB_GLS0_IU1_K1_LBSPPA0_LBSPPB0_LPA0_LPB0_LRVW4_LWPMn1_MIAV0_MKFGSU256_NTA0_NTB0_NTC3_NTD3_NEPBS0_NLCA1_NLCB1_ONLL1_PGR2_PLR5_PKA0_SIA3_SLW1_SS1_SU0_SUM0_SUS0_SPO1_SRVW0_SSO0_SVW4_TSGRA0_TSGRB0_TT8_128_TLDS0_UMLDSA0_UMLDSB0_USFGROn1_VAW1_VSn1_VW4_VWB4_VFLRP1_WSGRA1_WSGRB1_WG32_8_1_WGM30
    .symbol: 'Cijk_Ailk_Bjlk_HHS_BH_MT256x256x64_MI16x16x16x1_SN_1LDSB1_APM1_AF0EM8_AF1EM8_AMAS3_ASE_ASGT_ASLT_ASM_ASAE01_ASCE01_ASEM1_BL1_BS1_CLR1_DTVA0_DTVB0_ETSP_EPS1_ELFLR8_EMLL0_FSSC10_FL0_GLVWA8_GLVWB8_GRCGA1_GRPM1_GRVW8_GSU1_GSUASB_GLS0_IU1_K1_LBSPPA0_LBSPPB0_LPA0_LPB0_LRVW4_LWPMn1_MIAV0_MKFGSU256_NTA0_NTB0_NTC3_NTD3_NEPBS0_NLCA1_NLCB1_ONLL1_PGR2_PLR5_PKA0_SIA3_SLW1_SS1_SU0_SUM0_SUS0_SPO1_SRVW0_SSO0_SVW4_TSGRA0_TSGRB0_TT8_128_TLDS0_UMLDSA0_UMLDSB0_USFGROn1_VAW1_VSn1_VW4_VWB4_VFLRP1_WSGRA1_WSGRB1_WG32_8_1_WGM30.kd'
    .language:                   OpenCL C
    .language_version:
      - 2
      - 0
    .args:
      - .name:            Tensor2dSizeA
        .size:            8
        .offset:          0
        .value_kind:      by_value
        .value_type:      u64
      - .name:            Tensor2dSizeB
        .size:            8
        .offset:          8
        .value_kind:      by_value
        .value_type:      u64
      - .name:            AddressD
        .size:            8
        .offset:          16
        .value_kind:      by_value
        .value_type:      u64
      - .name:            AddressC
        .size:            8
        .offset:          24
        .value_kind:      by_value
        .value_type:      u64
      - .name:            AddressA
        .size:            8
        .offset:          32
        .value_kind:      by_value
        .value_type:      u64
      - .name:            AddressB
        .size:            8
        .offset:          40
        .value_kind:      by_value
        .value_type:      u64
      - .name:            Alpha
        .size:            4
        .offset:          48
        .value_kind:      by_value
        .value_type:      u32
      - .name:            Beta
        .size:            4
        .offset:          52
        .value_kind:      by_value
        .value_type:      u32
      - .name:            StridesD
        .size:            8
        .offset:          56
        .value_kind:      by_value
        .value_type:      u64
      - .name:            StridesC
        .size:            8
        .offset:          64
        .value_kind:      by_value
        .value_type:      u64
      - .name:            StridesA
        .size:            8
        .offset:          72
        .value_kind:      by_value
        .value_type:      u64
      - .name:            StridesB
        .size:            8
        .offset:          80
        .value_kind:      by_value
        .value_type:      u64
      - .name:            SizesFree
        .size:            12
        .offset:          88
        .value_kind:      by_value
        .value_type:      u96
      - .name:            SizesSum
        .size:            4
        .offset:          100
        .value_kind:      by_value
        .value_type:      u32
      - .name:            NumWorkGroups0
        .size:            4
        .offset:          104
        .value_kind:      by_value
        .value_type:      u32
      - .name:            NumWorkGroups1
        .size:            4
        .offset:          108
        .value_kind:      by_value
        .value_type:      u32
      - .name:            NumFullBlocks
        .size:            4
        .offset:          112
        .value_kind:      by_value
        .value_type:      u32
      - .name:            WgmRemainder1
        .size:            4
        .offset:          116
        .value_kind:      by_value
        .value_type:      u32
      - .name:            MagicNumberWgmRemainder1
        .size:            4
        .offset:          120
        .value_kind:      by_value
        .value_type:      u32
    .group_segment_fixed_size:   65536
    .kernarg_segment_align:      8
    .kernarg_segment_size:       128
    .max_flat_workgroup_size:    256
    .private_segment_fixed_size: 0
    .sgpr_count:                 76
    .sgpr_spill_count:           0
    .vgpr_count:                 256
    .vgpr_spill_count:           0
    .wavefront_size:             64
...
.end_amdgpu_metadata
Cijk_Ailk_Bjlk_HHS_BH_MT256x256x64_MI16x16x16x1_SN_1LDSB1_APM1_AF0EM8_AF1EM8_AMAS3_ASE_ASGT_ASLT_ASM_ASAE01_ASCE01_ASEM1_BL1_BS1_CLR1_DTVA0_DTVB0_ETSP_EPS1_ELFLR8_EMLL0_FSSC10_FL0_GLVWA8_GLVWB8_GRCGA1_GRPM1_GRVW8_GSU1_GSUASB_GLS0_IU1_K1_LBSPPA0_LBSPPB0_LPA0_LPB0_LRVW4_LWPMn1_MIAV0_MKFGSU256_NTA0_NTB0_NTC3_NTD3_NEPBS0_NLCA1_NLCB1_ONLL1_PGR2_PLR5_PKA0_SIA3_SLW1_SS1_SU0_SUM0_SUS0_SPO1_SRVW0_SSO0_SVW4_TSGRA0_TSGRB0_TT8_128_TLDS0_UMLDSA0_UMLDSB0_USFGROn1_VAW1_VSn1_VW4_VWB4_VFLRP1_WSGRA1_WSGRB1_WG32_8_1_WGM30:

/******************************************/
/* Asm syntax workarounds                 */
/******************************************/
.macro _v_add_co_u32 dst:req, cc:req, src0:req, src1:req, dpp=
   v_add_co_u32 \dst, \cc, \src0, \src1 \dpp
.endm

.macro _v_add_u32 dst:req, src0:req, src1:req, dpp=
   v_add_u32 \dst, \src0, \src1 \dpp
.endm

.macro _v_add_i32 dst:req, src0:req, src1:req, dpp=
   v_add_i32 \dst, \src0, \src1 \dpp
.endm

.macro _v_addc_co_u32 dst:req, ccOut:req, src0:req, ccIn:req, src1:req, dpp=
   v_addc_co_u32 \dst, \ccOut, \src0, \ccIn, \src1 \dpp
.endm

.macro _v_sub_co_u32 dst:req, cc:req, src0:req, src1:req, dpp=
   v_sub_co_u32 \dst, \cc, \src0, \src1 \dpp
.endm

.macro _v_sub_u32 dst:req, src0:req, src1:req, dpp=
   v_sub_u32 \dst, \src0, \src1 \dpp
.endm

.macro _v_sub_i32 dst:req, src0:req, src1:req, dpp=
   v_sub_i32 \dst, \src0, \src1 \dpp
.endm

.macro _v_add_lshl_u32 dst:req, src0:req, src1:req, shiftCnt:req
    v_add_lshl_u32 \dst, \src0, \src1, \shiftCnt
.endm

.macro _v_lshl_add_u32 dst:req, src0:req, src1:req, shiftCnt:req
    v_lshl_add_u32 \dst, \src0, \src1, \shiftCnt
.endm

.macro _v_lshl_or_b32 dst:req, src0:req, shiftCnt:req, src1:req
    v_lshl_or_b32 \dst, \src0, \shiftCnt, \src1
.endm

.macro _v_dot2acc_f32_f16 dst, src0, src1
v_dot2c_f32_f16 \dst, \src0, \src1
.endm

.macro _v_cmpx_lt_i16 dst, src0, src1=
   v_cmpx_lt_i16 \dst, \src0, \src1 
.endm

.macro _v_cmpx_lt_i32 dst, src0, src1=
   v_cmpx_lt_i32 \dst, \src0, \src1 
.endm

.macro _v_cmpx_lt_i64 dst, src0, src1=
   v_cmpx_lt_i64 \dst, \src0, \src1 
.endm

.macro _v_cmpx_lt_u16 dst, src0, src1=
   v_cmpx_lt_u16 \dst, \src0, \src1 
.endm

.macro _v_cmpx_lt_u32 dst, src0, src1=
   v_cmpx_lt_u32 \dst, \src0, \src1 
.endm

.macro _v_cmpx_lt_u64 dst, src0, src1=
   v_cmpx_lt_u64 \dst, \src0, \src1 
.endm

.macro _v_cmpx_eq_i16 dst, src0, src1=
   v_cmpx_eq_i16 \dst, \src0, \src1 
.endm

.macro _v_cmpx_eq_i32 dst, src0, src1=
   v_cmpx_eq_i32 \dst, \src0, \src1 
.endm

.macro _v_cmpx_eq_i64 dst, src0, src1=
   v_cmpx_eq_i64 \dst, \src0, \src1 
.endm

.macro _v_cmpx_eq_u16 dst, src0, src1=
   v_cmpx_eq_u16 \dst, \src0, \src1 
.endm

.macro _v_cmpx_eq_u32 dst, src0, src1=
   v_cmpx_eq_u32 \dst, \src0, \src1 
.endm

.macro _v_cmpx_eq_u64 dst, src0, src1=
   v_cmpx_eq_u64 \dst, \src0, \src1 
.endm

.macro _v_cmpx_le_i16 dst, src0, src1=
   v_cmpx_le_i16 \dst, \src0, \src1 
.endm

.macro _v_cmpx_le_i32 dst, src0, src1=
   v_cmpx_le_i32 \dst, \src0, \src1 
.endm

.macro _v_cmpx_le_i64 dst, src0, src1=
   v_cmpx_le_i64 \dst, \src0, \src1 
.endm

.macro _v_cmpx_le_u16 dst, src0, src1=
   v_cmpx_le_u16 \dst, \src0, \src1 
.endm

.macro _v_cmpx_le_u32 dst, src0, src1=
   v_cmpx_le_u32 \dst, \src0, \src1 
.endm

.macro _v_cmpx_le_u64 dst, src0, src1=
   v_cmpx_le_u64 \dst, \src0, \src1 
.endm

.macro _v_cmpx_gt_i16 dst, src0, src1=
   v_cmpx_gt_i16 \dst, \src0, \src1 
.endm

.macro _v_cmpx_gt_i32 dst, src0, src1=
   v_cmpx_gt_i32 \dst, \src0, \src1 
.endm

.macro _v_cmpx_gt_i64 dst, src0, src1=
   v_cmpx_gt_i64 \dst, \src0, \src1 
.endm

.macro _v_cmpx_gt_u16 dst, src0, src1=
   v_cmpx_gt_u16 \dst, \src0, \src1 
.endm

.macro _v_cmpx_gt_u32 dst, src0, src1=
   v_cmpx_gt_u32 \dst, \src0, \src1 
.endm

.macro _v_cmpx_gt_u64 dst, src0, src1=
   v_cmpx_gt_u64 \dst, \src0, \src1 
.endm

.macro _v_cmpx_ne_i16 dst, src0, src1=
   v_cmpx_ne_i16 \dst, \src0, \src1 
.endm

.macro _v_cmpx_ne_i32 dst, src0, src1=
   v_cmpx_ne_i32 \dst, \src0, \src1 
.endm

.macro _v_cmpx_ne_i64 dst, src0, src1=
   v_cmpx_ne_i64 \dst, \src0, \src1 
.endm

.macro _v_cmpx_ne_u16 dst, src0, src1=
   v_cmpx_ne_u16 \dst, \src0, \src1 
.endm

.macro _v_cmpx_ne_u32 dst, src0, src1=
   v_cmpx_ne_u32 \dst, \src0, \src1 
.endm

.macro _v_cmpx_ne_u64 dst, src0, src1=
   v_cmpx_ne_u64 \dst, \src0, \src1 
.endm

.macro _v_cmpx_lg_i16 dst, src0, src1=
   v_cmpx_lg_i16 \dst, \src0, \src1 
.endm

.macro _v_cmpx_lg_i32 dst, src0, src1=
   v_cmpx_lg_i32 \dst, \src0, \src1 
.endm

.macro _v_cmpx_lg_i64 dst, src0, src1=
   v_cmpx_lg_i64 \dst, \src0, \src1 
.endm

.macro _v_cmpx_lg_u16 dst, src0, src1=
   v_cmpx_lg_u16 \dst, \src0, \src1 
.endm

.macro _v_cmpx_lg_u32 dst, src0, src1=
   v_cmpx_lg_u32 \dst, \src0, \src1 
.endm

.macro _v_cmpx_lg_u64 dst, src0, src1=
   v_cmpx_lg_u64 \dst, \src0, \src1 
.endm

.macro _v_cmpx_ge_i16 dst, src0, src1=
   v_cmpx_ge_i16 \dst, \src0, \src1 
.endm

.macro _v_cmpx_ge_i32 dst, src0, src1=
   v_cmpx_ge_i32 \dst, \src0, \src1 
.endm

.macro _v_cmpx_ge_i64 dst, src0, src1=
   v_cmpx_ge_i64 \dst, \src0, \src1 
.endm

.macro _v_cmpx_ge_u16 dst, src0, src1=
   v_cmpx_ge_u16 \dst, \src0, \src1 
.endm

.macro _v_cmpx_ge_u32 dst, src0, src1=
   v_cmpx_ge_u32 \dst, \src0, \src1 
.endm

.macro _v_cmpx_ge_u64 dst, src0, src1=
   v_cmpx_ge_u64 \dst, \src0, \src1 
.endm

.macro _v_cmpx_o_i16 dst, src0, src1=
   v_cmpx_o_i16 \dst, \src0, \src1 
.endm

.macro _v_cmpx_o_i32 dst, src0, src1=
   v_cmpx_o_i32 \dst, \src0, \src1 
.endm

.macro _v_cmpx_o_i64 dst, src0, src1=
   v_cmpx_o_i64 \dst, \src0, \src1 
.endm

.macro _v_cmpx_o_u16 dst, src0, src1=
   v_cmpx_o_u16 \dst, \src0, \src1 
.endm

.macro _v_cmpx_o_u32 dst, src0, src1=
   v_cmpx_o_u32 \dst, \src0, \src1 
.endm

.macro _v_cmpx_o_u64 dst, src0, src1=
   v_cmpx_o_u64 \dst, \src0, \src1 
.endm

.macro _v_cmpx_u_i16 dst, src0, src1=
   v_cmpx_u_i16 \dst, \src0, \src1 
.endm

.macro _v_cmpx_u_i32 dst, src0, src1=
   v_cmpx_u_i32 \dst, \src0, \src1 
.endm

.macro _v_cmpx_u_i64 dst, src0, src1=
   v_cmpx_u_i64 \dst, \src0, \src1 
.endm

.macro _v_cmpx_u_u16 dst, src0, src1=
   v_cmpx_u_u16 \dst, \src0, \src1 
.endm

.macro _v_cmpx_u_u32 dst, src0, src1=
   v_cmpx_u_u32 \dst, \src0, \src1 
.endm

.macro _v_cmpx_u_u64 dst, src0, src1=
   v_cmpx_u_u64 \dst, \src0, \src1 
.endm
.macro _v_mac_f32 c:req, a:req, b:req
    v_fmac_f32 \c, \a, \b
.endmacro

/* scale global load macros */
.macro _s_load_b32 dst base offset
    s_load_dword \dst \base \offset
.endm

.macro _s_load_b64 dst base offset
    s_load_dwordx2 \dst \base \offset
.endm

.macro _s_load_b128 dst base offset
    s_load_dwordx4 \dst \base \offset
.endm

.macro _s_load_b256 dst base offset
    s_load_dwordx8 \dst \base \offset
.endm

.macro _s_load_b512 dst base offset
    s_load_dwordx16 \dst \base \offset
.endm


/* ds operation macros */
.macro _ds_load_u8 dst src offset
    ds_read_u8 \dst \src \offset
.endm

.macro _ds_load_u8_d16_hi dst src offset
    ds_read_u8_d16_hi \dst \src \offset
.endm

.macro _ds_load_u16 dst src offset
    ds_read_u16 \dst \src \offset
.endm

.macro _ds_load_u16_d16_hi dst src offset
    ds_read_u16_d16_hi \dst \src \offset
.endm

.macro _ds_load_b32 dst src offset
    ds_read_b32 \dst \src \offset
.endm

.macro _ds_load_b64 dst src offset
    ds_read_b64 \dst \src \offset
.endm

.macro _ds_load_b128 dst src offset
    ds_read_b128 \dst \src \offset
.endm

.macro _ds_store_b8 dst src offset
    ds_write_b8 \dst \src \offset
.endm

.macro _ds_store_b8_d16_hi dst src offset
    ds_write_b8_d16_hi \dst \src \offset
.endm

.macro _ds_store_b16 dst src offset
    ds_write_b16 \dst \src \offset
.endm

.macro _ds_store_b16_d16_hi dst src offset
    ds_write_b16_d16_hi \dst \src \offset
.endm

.macro _ds_store_b32 dst src offset
    ds_write_b32 \dst \src \offset
.endm

.macro _ds_store_b64 dst src offset
    ds_write_b64 \dst \src \offset
.endm

.macro _ds_store_b128 dst src offset
    ds_write_b128 \dst \src \offset
.endm

.macro _ds_load2_b32 dst src offset1 offset2
    ds_read2_b32 \dst \src \offset1 \offset2
.endm

.macro _ds_load2_b64 dst src offset1 offset2
    ds_read2_b64 \dst \src \offset1 \offset2
.endm

.macro _ds_store2_b32 dst src offset1 offset2
    ds_write2_b32 \dst \src \offset1 \offset2
.endm

.macro _ds_store2_b64 dst src offset1 offset2
    ds_write2_b64 \dst \src \offset1 \offset2
.endm


/* buffer memory operation macros */
.macro _buffer_load_b32 dst voffset base soffset offen ioffset md0 md1 md2
    buffer_load_dword \dst \voffset \base \soffset \offen \ioffset \md0 \md1 \md2
.endm

.macro _buffer_load_b64 dst voffset base soffset offen ioffset md0 md1 md2
    buffer_load_dwordx2 \dst \voffset \base \soffset \offen \ioffset \md0 \md1 \md2
.endm

.macro _buffer_load_b96 dst voffset base soffset offen ioffset md0 md1 md2
    buffer_load_dwordx3 \dst \voffset \base \soffset \offen \ioffset \md0 \md1 \md2
.endm

.macro _buffer_load_b128 dst voffset base soffset offen ioffset md0 md1 md2
    buffer_load_dwordx4 \dst \voffset \base \soffset \offen \ioffset \md0 \md1 \md2
.endm

.macro _buffer_load_d16_b16 dst voffset base soffset offen ioffset md0 md1 md2
    buffer_load_short_d16 \dst \voffset \base \soffset \offen \ioffset \md0 \md1 \md2
.endm

.macro _buffer_load_d16_hi_b16 dst voffset base soffset offen ioffset md0 md1 md2
    buffer_load_short_d16_hi \dst \voffset \base \soffset \offen \ioffset \md0 \md1 \md2
.endm

.macro _buffer_load_d16_u8 dst voffset base soffset offen ioffset md0 md1 md2
    buffer_load_ubyte_d16 \dst \voffset \base \soffset \offen \ioffset \md0 \md1 \md2
.endm

.macro _buffer_load_d16_hi_u8 dst voffset base soffset offen ioffset md0 md1 md2
    buffer_load_ubyte_d16_hi \dst \voffset \base \soffset \offen \ioffset \md0 \md1 \md2
.endm

.macro _buffer_load_u16 dst voffset base soffset offen ioffset md0 md1 md2
    buffer_load_ushort \dst \voffset \base \soffset \offen \ioffset \md0 \md1 \md2
.endm

.macro _buffer_load_b32_dtl voffset base soffset offen ioffset md0 md1 md2
    buffer_load_dword \voffset \base \soffset \offen \ioffset \md0 \md1 \md2
.endm

.macro _buffer_load_b64_dtl voffset base soffset offen ioffset md0 md1 md2
    buffer_load_dwordx2 \voffset \base \soffset \offen \ioffset \md0 \md1 \md2
.endm

.macro _buffer_load_b128_dtl voffset base soffset offen ioffset md0 md1 md2
    buffer_load_dwordx4 \voffset \base \soffset \offen \ioffset \md0 \md1 \md2
.endm

.macro _buffer_load_u16_dtl voffset base soffset offen ioffset md0 md1 md2
    buffer_load_ushort \voffset \base \soffset \offen \ioffset \md0 \md1 \md2
.endm

.macro _buffer_store_b32 src voffset base soffset offen ioffset md0 md1 md2
    buffer_store_dword \src \voffset \base \soffset \offen \ioffset \md0 \md1 \md2
.endm

.macro _buffer_store_b64 src voffset base soffset offen ioffset md0 md1 md2
    buffer_store_dwordx2 \src \voffset \base \soffset \offen \ioffset \md0 \md1 \md2
.endm

.macro _buffer_store_b96 src voffset base soffset offen ioffset md0 md1 md2
    buffer_store_dwordx3 \src \voffset \base \soffset \offen \ioffset \md0 \md1 \md2
.endm

.macro _buffer_store_b128 src voffset base soffset offen ioffset md0 md1 md2
    buffer_store_dwordx4 \src \voffset \base \soffset \offen \ioffset \md0 \md1 \md2
.endm

.macro _buffer_store_b16 src voffset base soffset offen ioffset md0 md1 md2
    buffer_store_short \src \voffset \base \soffset \offen \ioffset \md0 \md1 \md2
.endm

.macro _buffer_store_d16_hi_b16 src voffset base soffset offen ioffset md0 md1 md2
    buffer_store_short_d16_hi \src \voffset \base \soffset \offen \ioffset \md0 \md1 \md2
.endm

.macro _buffer_store_b8 src voffset base soffset offen ioffset md0 md1 md2
    buffer_store_byte \src \voffset \base \soffset \offen \ioffset \md0 \md1 \md2
.endm

.macro _buffer_store_d16_hi_b8 src voffset base soffset offen ioffset md0 md1 md2
    buffer_store_byte_d16_hi \src \voffset \base \soffset \offen \ioffset \md0 \md1 \md2
.endm

.macro _buffer_atomic_cmpswap_b32 dst voffset base soffset offen ioffset md0 md1 md2
    buffer_atomic_cmpswap \dst \voffset \base \soffset \offen \ioffset \md0 \md1 \md2
.endm

.macro _buffer_atomic_cmpswap_b64 dst voffset base soffset offen ioffset md0 md1 md2
    buffer_atomic_cmpswap_x2 \dst \voffset \base \soffset \offen \ioffset \md0 \md1 \md2
.endm


/* buffer memory operation macros */
.macro _global_load_b32 dst base src ioffset md0 md1 md2
    global_load_dword \dst \base \src \ioffset \md0 \md1 \md2
.endm

.macro _global_load_b64 dst base src ioffset md0 md1 md2
    global_load_dwordx2 \dst \base \src \ioffset \md0 \md1 \md2
.endm

.macro _global_load_b96 dst base src ioffset md0 md1 md2
    global_load_dwordx3 \dst \base \src \ioffset \md0 \md1 \md2
.endm

.macro _global_load_b128 dst base src ioffset md0 md1 md2
    global_load_dwordx4 \dst \base \src \ioffset \md0 \md1 \md2
.endm

.macro _global_load_d16_b16 dst base src ioffset md0 md1 md2
    global_load_short_d16 \dst \base \src \ioffset \md0 \md1 \md2
.endm

.macro _global_load_d16_hi_b16 dst base src ioffset md0 md1 md2
    global_load_short_d16_hi \dst \base \src \ioffset \md0 \md1 \md2
.endm

.macro _global_load_d16_u8 dst base src ioffset md0 md1 md2
    global_load_ubyte_d16 \dst \base \src \ioffset \md0 \md1 \md2
.endm

.macro _global_load_d16_hi_u8 dst base src ioffset md0 md1 md2
    global_load_ubyte_d16_hi \dst \base \src \ioffset \md0 \md1 \md2
.endm

.macro _global_load_u16 dst base src ioffset md0 md1 md2
    global_load_ushort \dst \base \src \ioffset \md0 \md1 \md2
.endm

.macro _global_store_b32 base src src2 md0 md1 md2
    global_store_dword \base \src \src2 \md0 \md1 \md2
.endm

.macro _global_store_b64 base src src2 md0 md1 md2
    global_store_dwordx2 \base \src \src2 \md0 \md1 \md2
.endm

.macro _global_store_b96 base src src2 md0 md1 md2
    global_store_dwordx3 \base \src \src2 \md0 \md1 \md2
.endm

.macro _global_store_b128 base src src2 md0 md1 md2
    global_store_dwordx4 \base \src \src2 \md0 \md1 \md2
.endm

.macro _global_store_d16_b16 base src src2 md0 md1 md2
    global_store_short \base \src \src2 \md0 \md1 \md2
.endm

.macro _global_store_d16_hi_b16 base src src2 md0 md1 md2
    global_store_short_d16_hi \base \src \src2 \md0 \md1 \md2
.endm

.macro _global_store_d16_u8 base src src2 md0 md1 md2
    global_store_ubyte_d16 \base \src \src2 \md0 \md1 \md2
.endm

.macro _global_store_d16_hi_u8 base src src2 md0 md1 md2
    global_store_ubyte_d16_hi \base \src \src2 \md0 \md1 \md2
.endm

.macro _global_store_u16 base src src2 md0 md1 md2
    global_store_ushort \base \src \src2 \md0 \md1 \md2
.endm

.macro _global_atomic_cmpswap_b32 tmp base data src ioffset md
    global_atomic_cmpswap \tmp \base \data \src \ioffset \md
.endm

.macro _global_atomic_cmpswap_b64 tmp base data src ioffset md
    global_atomic_cmpswap_x2 \tmp \base \data \src \ioffset \md
.endm


/******************************************/
/* Magic div and mod functions            */
/******************************************/
.macro V_MAGIC_DIV dstIdx:req, dividend:req, magicNumber:req, magicShift:req, magicA:req
    v_mul_hi_u32 v[\dstIdx+1], \dividend, \magicNumber
    v_mul_lo_u32 v[\dstIdx+0], \dividend, \magicA
    _v_add_u32 v[\dstIdx+0], v[\dstIdx+0], v[\dstIdx+1]
    v_lshrrev_b32 v[\dstIdx+0], \magicShift, v[\dstIdx+0]
.endm

/******************************************/
/* VGPR Assignments                       */
/******************************************/
/* ValuC range: [0-0), serializedStore enabled */
.set vgprValuC, 0
/* ValuA/B   Xn=PLR buffer idx,  In=InnerUnroll idx */
.set vgprValuA_X0_I0, 0
.set vgprValuA_X1_I0, 0
.set vgprValuA_X2_I0, 0
.set vgprValuA_X3_I0, 0
.set vgprValuA_X0_I0_D0, 16
.set vgprValuA_X0_I0_D1, 20
.set vgprValuA_X0_I0_D2, 24
.set vgprValuA_X0_I0_D3, 28
.set vgprValuA_X1_I0_D0, 32
.set vgprValuA_X1_I0_D1, 36
.set vgprValuA_X1_I0_D2, 40
.set vgprValuA_X1_I0_D3, 44
.set vgprValuA_X2_I0_D0, 48
.set vgprValuA_X2_I0_D1, 52
.set vgprValuA_X2_I0_D2, 56
.set vgprValuA_X2_I0_D3, 60
.set vgprValuA_X3_I0_D0, 64
.set vgprValuA_X3_I0_D1, 68
.set vgprValuA_X3_I0_D2, 72
.set vgprValuA_X3_I0_D3, 76
.set vgprG2LA, 164
.set vgprValuB_X0_I0, 80
.set vgprValuB_X1_I0, 80
.set vgprValuB_X2_I0, 80
.set vgprValuB_X3_I0, 80
.set vgprValuB_X0_I0_D0, 96
.set vgprValuB_X0_I0_D1, 100
.set vgprValuB_X0_I0_D2, 104
.set vgprValuB_X0_I0_D3, 108
.set vgprValuB_X1_I0_D0, 112
.set vgprValuB_X1_I0_D1, 116
.set vgprValuB_X1_I0_D2, 120
.set vgprValuB_X1_I0_D3, 124
.set vgprValuB_X2_I0_D0, 128
.set vgprValuB_X2_I0_D1, 132
.set vgprValuB_X2_I0_D2, 136
.set vgprValuB_X2_I0_D3, 140
.set vgprValuB_X3_I0_D0, 144
.set vgprValuB_X3_I0_D1, 148
.set vgprValuB_X3_I0_D2, 152
.set vgprValuB_X3_I0_D3, 156
.set vgprG2LB, 196
.set vgprLocalWriteAddrA, 160
.set vgprLocalWriteAddrB, 161
.set vgprGlobalReadOffsetA, 162
.set vgprGlobalReadOffsetB, 163
.set vgprLocalReadAddrA, 228
.set vgprLocalReadAddrB, 229
.set vgprSerial, 230
/* Num VGPR=256 */
/* Num AccVGPR=256 */

/******************************************/
/* SGPR Assignments                       */
/******************************************/
.set sgprKernArgAddress, 0 // (2)
.set sgprWorkGroup0, 2 // (1)
.set sgprWorkGroup1, 3 // (1)
.set sgprWorkGroup2, 4 // (1)
.set sgprLoopCounterL, 5 // (1)
.set sgprOrigLoopCounter, 6 // (1)
.set sgprSrdA, 8 // (4)
.set sgprSrdB, 12 // (4)
.set sgprSrdD, 16 // (4)
.set sgprSrdC, 20 // (4)
.set sgprTensor2dSizeA, 24 // (2)
.set sgprTensor2dSizeB, 26 // (2)
.set sgprAddressD, 28 // (2)
.set sgprAddressC, 30 // (2)
.set sgprAddressA, 32 // (2)
.set sgprAddressB, 34 // (2)
.set sgprAlpha, 36 // (1)
.set sgprBeta, 37 // (1)
.set sgprStridesD, 38 // (2)
.set sgprStridesC, 40 // (2)
.set sgprStridesA, 42 // (2)
.set sgprStridesB, 44 // (2)
.set sgprSizesFree, 46 // (3)
.set sgprSizesSum, 49 // (1)
.set sgprNumWorkGroups0, 50 // (1)
.set sgprNumWorkGroups1, 51 // (1)
.set sgprNumFullBlocks, 52 // (1)
.set sgprWgmRemainder1, 53 // (1)
.set sgprMagicNumberWgmRemainder1, 54 // (1)
.set sgprShadowLimitA, 0 // (2)
.set sgprShadowLimitB, 28 // (2)
.set sgprGlobalReadIncsA, 7 // (1)
.set sgprGlobalReadIncsB, 30 // (1)
.set sgprPackKForV0, 31 // (1)
.set sgprPackKForV1, 32 // (1)
.set sgprScalarGlobalReadOffsetA, 58 // (7)
.set sgprScalarGlobalReadOffsetB, 65 // (7)
/* max SGPR=76 */

/* Size Assignments */
.set sgprSizeI, sgprSizesFree+0
.set sgprSizeJ, sgprSizesFree+1
.set sgprSizeK, sgprSizesFree+2
.set sgprSizeL, sgprSizesSum+0

/* Stride Assignments */
.set constStrideD0I, 1
.set sgprStrideD1J, sgprStridesD+0
.set sgprStrideDK, sgprStridesD+1
.set constStrideC0I, 1
.set sgprStrideC1J, sgprStridesC+0
.set sgprStrideCK, sgprStridesC+1
.set constStrideA0I, 1
.set sgprStrideAL, sgprStridesA+0
.set sgprStrideAK, sgprStridesA+1
.set constStrideB1J, 1
.set sgprStrideBL, sgprStridesB+0
.set sgprStrideBK, sgprStridesB+1

.set MT0, 256
.set MT1, 256
.set DepthU, 64
.set GSU, 1
.set BpeA, 2
.set BpeALog2, 1
.set BpeB, 2
.set BpeBLog2, 1
/* Number of elements to shift-left SRD */
.set SrdShiftLeftA, 8
.set SrdShiftLeftB, 8
/* 2GB limit - set offsets to -1 to exceed this and clamp */
.set BufferLimitA, 0xffffffff
.set BufferLimitB, 0xffffffff
.set BufferOOB, 0xfffff000

/******************************************/
/* Bits 127:96 of SRD.                    */
/* hex: 0x00020000                        */
/* dst_sel_x (3b): 0                      */
/* dst_sel_y (3b): 0                      */
/* dst_sel_z (3b): 0                      */
/* dst_sel_w (3b): 0                      */
/* num_format (3b): 0                     */
/* data_format (4b): 4                    */
/* user_vm_enable (1b): 0                 */
/* user_vm_mode (1b): 0                   */
/* index_stride (2b): 0                   */
/* add_tid_enable (1b): 0                 */
/* _unusedA (3b): 0                       */
/* nv (1b): 0                             */
/* _unusedB (2b): 0                       */
/* type (2b): 0                           */
/******************************************/
.set Srd127_96, 0x00020000

/* Global Offset A */
.macro GLOBAL_OFFSET_A vgprAddr:req vgprOffset0I:req vgprOffsetL:req vgprTmp:req
v_mul_lo_u32 v[\vgprTmp+0], s[sgprStrideAL], v[\vgprOffsetL] // mul d1 lower
_v_add_co_u32 v[\vgprAddr+0], vcc, v[\vgprOffset0I], v[\vgprTmp+0] // accumulate K lower
_v_add_u32 v[\vgprAddr+0], 0x8, v[\vgprAddr+0]     // add prepad for pointer shift
v_lshlrev_b32 v[\vgprAddr+0], 0x1, v[\vgprAddr+0]  // offset *= bytes/element
.endm

/* Global Offset B */
.macro GLOBAL_OFFSET_B vgprAddr:req vgprOffset1J:req vgprOffsetL:req vgprTmp:req
v_mul_lo_u32 v[\vgprTmp+0], s[sgprStrideBL], v[\vgprOffsetL] // mul d1 lower
_v_add_co_u32 v[\vgprAddr+0], vcc, v[\vgprOffset1J], v[\vgprTmp+0] // accumulate K lower
_v_add_u32 v[\vgprAddr+0], 0x8, v[\vgprAddr+0]     // add prepad for pointer shift
v_lshlrev_b32 v[\vgprAddr+0], 0x1, v[\vgprAddr+0]  // offset *= bytes/element
.endm

/******************************************/
/* Dynamic Scalar Divide: vQuotient=vDividend/vDivisor; vRemainder=vDividend%vDivisor; */
/******************************************/
.macro DYNAMIC_VECTOR_DIVIDE vQuotient vRemainder vDividend vDivisor vTmp0 vTmp1 sTmp
v_cvt_f32_u32 v[\vQuotient], v[\vDivisor]          // 
v_rcp_f32 v[\vQuotient], v[\vQuotient]             // 
v_mul_f32 v[\vQuotient], 0x4f800000, v[\vQuotient] // 
v_cvt_u32_f32 v[\vQuotient], v[\vQuotient]         // 
v_mul_lo_u32 v[\vRemainder], v[\vDivisor], v[\vQuotient] // 
v_mul_hi_u32 v[\vTmp0], v[\vDivisor], v[\vQuotient] // 
_v_sub_co_u32 v[\vTmp1], vcc, 0x0, v[\vRemainder]  // 
v_cmp_ne_i32 s[\sTmp:\sTmp+1], 0x0, v[\vTmp0]      // 
v_cndmask_b32 v[\vRemainder], v[\vTmp1], v[\vRemainder], s[\sTmp:\sTmp+1] // 
v_mul_hi_u32 v[\vRemainder], v[\vRemainder], v[\vQuotient] // 
_v_sub_co_u32 v[\vTmp0], vcc, v[\vQuotient], v[\vRemainder] // 
_v_add_co_u32 v[\vQuotient], vcc, v[\vQuotient], v[\vRemainder] // 
v_cndmask_b32 v[\vQuotient], v[\vQuotient], v[\vTmp0], s[\sTmp:\sTmp+1] // 
v_mul_hi_u32 v[\vQuotient], v[\vQuotient], v[\vDividend] // 
v_mul_lo_u32 v[\vRemainder], v[\vQuotient], v[\vDivisor] // 
_v_sub_co_u32 v[\vTmp0], vcc, v[\vDividend], v[\vRemainder] // 
v_cmp_ge_u32 s[\sTmp:\sTmp+1], v[\vDividend], v[\vRemainder] // 
_v_add_co_u32 v[\vRemainder], vcc, 0x1, v[\vQuotient] // 
_v_add_co_u32 v[\vTmp1], vcc, -1, v[\vQuotient]    // 
v_cmp_le_u32 vcc, v[\vDivisor], v[\vTmp0]          // 
s_and_b64 vcc, s[\sTmp:\sTmp+1], vcc               // 
v_cndmask_b32 v[\vQuotient], v[\vQuotient], v[\vRemainder], vcc // 
v_cndmask_b32 v[\vQuotient], v[\vTmp1], v[\vQuotient], s[\sTmp:\sTmp+1] // 
v_cmp_ne_i32 vcc, 0x0, v[\vDivisor]                // 
v_cndmask_b32 v[\vQuotient], -1, v[\vQuotient], vcc // final result
v_mul_lo_u32 v[\vRemainder], v[\vQuotient], v[\vDivisor] // 
_v_sub_co_u32 v[\vRemainder], vcc, v[\vDividend], v[\vRemainder] // final result
.endm


	;; [unrolled: 1-line block ×3, first 2 shown]
/******************************************/
/* Allocate Resources                     */
/******************************************/

Cijk_Ailk_Bjlk_HHS_BH_MT256x256x64_MI16x16x16x1_SN_1LDSB1_APM1_AF0EM8_AF1EM8_AMAS3_ASE_ASGT_ASLT_ASM_ASAE01_ASCE01_ASEM1_BL1_BS1_CLR1_DTVA0_DTVB0_ETSP_EPS1_ELFLR8_EMLL0_FSSC10_FL0_GLVWA8_GLVWB8_GRCGA1_GRPM1_GRVW8_GSU1_GSUASB_GLS0_IU1_K1_LBSPPA0_LBSPPB0_LPA0_LPB0_LRVW4_LWPMn1_MIAV0_MKFGSU256_NTA0_NTB0_NTC3_NTD3_NEPBS0_NLCA1_NLCB1_ONLL1_PGR2_PLR5_PKA0_SIA3_SLW1_SS1_SU0_SUM0_SUS0_SPO1_SRVW0_SSO0_SVW4_TSGRA0_TSGRB0_TT8_128_TLDS0_UMLDSA0_UMLDSB0_USFGROn1_VAW1_VSn1_VW4_VWB4_VFLRP1_WSGRA1_WSGRB1_WG32_8_1_WGM30_preloaded: // Kernel start when preloading
s_setprio 3                                        // optimization store

/* Load Kernel Args */
_s_load_b512 s[24:39], s[sgprKernArgAddress:sgprKernArgAddress+1], 0x0 // 
_s_load_b256 s[40:47], s[sgprKernArgAddress:sgprKernArgAddress+1], 0x40 // 
_s_load_b128 s[48:51], s[sgprKernArgAddress:sgprKernArgAddress+1], 0x60 // 
_s_load_b64 s[52:53], s[sgprKernArgAddress:sgprKernArgAddress+1], 0x70 // 
_s_load_b32 s54, s[sgprKernArgAddress:sgprKernArgAddress+1], 0x78 // 
s_mov_b32 m0, 0x10000                              // LDS clamp at 65536 bytes
v_mov_b32 v[vgprSerial], v0                        // thread serial id

/******************************************/
/* Local Read Addresses                   */
/******************************************/


/* local read addresses: tile assignments a/b */

/*lr0I*/
v_and_b32 v1, 63, v[vgprSerial]                    // 0. thread id in wave: wtid = tid % wavelength(64)
v_and_b32 v0, 15, v1                               // 1. N offset: nIdx = wtid % MI_N(16)
                                                   // 1. N offset: nOffset = nIdx * nStride(1) (multiplier is 1, do nothing)
                                                   // 2. block offset: bnIdx = bnIdx % num1DBlocks(1) is 0. do nothing
v_lshlrev_b32 v0, 0x2, v0                          // 4. apply VectorWidth: bnOffset = bnOffset * vw(4)
v_lshrrev_b32 v1, 4, v1                            // 5. K offset: kIdx = wtid / (MIN(16) * MIBB(1))
v_lshlrev_b32 v1, 0xa, v1                          // 5. K offset: lrKOffset = kIdx * mStride(1024)
_v_add_u32 v0, v1, v0                              // 6. offset in wave: lrOffset = bnOffset + lrKOffset
v_lshrrev_b32 v2, 6, v[vgprSerial]                 // 7. wave offset in N dimen: wtid = tid / dividedForWaveId(64)
v_and_b32 v1, 1, v2                                // 7. wave offset in M dimen: wtid0 = wtid / num1DWaves(2)
v_lshlrev_b32 v1, 0x6, v1                          // 7. wave offset in M dimen: wOffset = wtid0 * W0Stride(64)
_v_add_u32 v0, v1, v0                              // 8. final local read offset: flrOffset = lrOffset + WOffset
/*lr1J*/
v_and_b32 v2, 63, v[vgprSerial]                    // 0. thread id in wave: wtid = tid % wavelength(64)
v_and_b32 v1, 15, v2                               // 1. N offset: nIdx = wtid % MI_N(16)
                                                   // 1. N offset: nOffset = nIdx * nStride(1) (multiplier is 1, do nothing)
                                                   // 2. block offset: bnIdx = bnIdx % num1DBlocks(1) is 0. do nothing
v_lshlrev_b32 v1, 0x2, v1                          // 4. apply VectorWidth: bnOffset = bnOffset * vw(4)
v_lshrrev_b32 v2, 4, v2                            // 5. K offset: kIdx = wtid / (MIN(16) * MIBB(1))
v_lshlrev_b32 v2, 0xa, v2                          // 5. K offset: lrKOffset = kIdx * mStride(1024)
_v_add_u32 v1, v2, v1                              // 6. offset in wave: lrOffset = bnOffset + lrKOffset
v_lshrrev_b32 v3, 7, v[vgprSerial]                 // 7. wave offset in N dimen: wtid = tid / dividedForWaveId(128)
v_and_b32 v2, 1, v3                                // 7. wave offset in M dimen: wtid0 = wtid / num1DWaves(2)
v_lshlrev_b32 v2, 0x6, v2                          // 7. wave offset in M dimen: wOffset = wtid0 * W0Stride(64)
_v_add_u32 v1, v2, v1                              // 8. final local read offset: flrOffset = lrOffset + WOffset


/* local read addresses: final offsets a */

v_lshlrev_b32 v[vgprLocalReadAddrA], 0x1, v0       // Final Offset: offset = (lro0)*bpe


/* local read addresses: final offsets b */

v_lshlrev_b32 v[vgprLocalReadAddrB], 0x1, v1       // Final Offset: offset = (lro1)*bpe


/* local read addresses: declare addresses a */

/* N/A */


/* local read addresses: declare addresses b */

_v_add_co_u32 v[vgprLocalReadAddrB+0], vcc, 0x8000, v[vgprLocalReadAddrB+0] //  += LdsOffsetB (lower)


/* global read addresses: tile offset assignment a */

/* LVCA = 32 */
/* v0 = (local)groA-tile = serial%LVCA (note (wgA*MTA) will be added to SRD) */
/* v1 = groA-unroll = serial/LVCA */
v_and_b32 v2, 63, v[vgprSerial]                    // v2 = v[vgprSerial] % 64
v_lshrrev_b32 v1, 5, v2                            // v1 = v2 / 32
v_and_b32 v0, 31, v2                               // v0 = v2 % 32
v_readfirstlane_b32 s56, v[vgprSerial]             // WaveIdxWavefrontWidth
s_lshr_b32 s56, s56, 0x6                           // WaveId
s_mul_i32 s56, s56, 16                             // Global Read Wave: each wave loads continuous lsp(2)*nrp(8) columns
_v_add_u32 v1, s56, v1                             // Global Read Wave: add back to column index
/* gro-tile *= glvw */
v_lshlrev_b32 v0, 0x3, v0                          // v0 = v0 * 8


/* global read addresses: tile offset assignment b */

/* LVCB = 32 */
/* v2 = (local)groB-tile = serial%LVCB (note (wgB*MTB) will be added to SRD) */
/* v3 = groB-unroll = serial/LVCB */
v_and_b32 v4, 63, v[vgprSerial]                    // v4 = v[vgprSerial] % 64
v_lshrrev_b32 v3, 5, v4                            // v3 = v4 / 32
v_and_b32 v2, 31, v4                               // v2 = v4 % 32
v_readfirstlane_b32 s56, v[vgprSerial]             // WaveIdxWavefrontWidth
s_lshr_b32 s56, s56, 0x6                           // WaveId
s_mul_i32 s56, s56, 16                             // Global Read Wave: each wave loads continuous lsp(2)*nrp(8) columns
_v_add_u32 v3, s56, v3                             // Global Read Wave: add back to column index
/* gro-tile *= glvw */
v_lshlrev_b32 v2, 0x3, v2                          // v2 = v2 * 8


/******************************************/
/* Local Write Addresses                  */
/******************************************/

/* lwaTileAssignmentA = v0 */

/* lwaTileAssignmentB = v2 */

/* lwaUnrollAssignmentA = v1 */

/* lwaUnrollAssignmentB = v3 */


/* local write addresses: first offset a */

v_mul_u32_u24 v[vgprLocalWriteAddrA], 0x100, v1    // lwAL**(MTA + PAD)
_v_add_lshl_u32 v[vgprLocalWriteAddrA], v0, v[vgprLocalWriteAddrA], 0x1 // lwFOA = (lwAA + lwAL*(MT0I+PAD))*bpe


/* local write addresses: first offset b */

v_mul_u32_u24 v[vgprLocalWriteAddrB], 0x100, v3    // lwBL**(MTB + PAD)
_v_add_lshl_u32 v[vgprLocalWriteAddrB], v2, v[vgprLocalWriteAddrB], 0x1 // lwFOB = (lwBB + lwBL*(MT1J+PAD))*bpe
_v_add_co_u32 v[vgprLocalWriteAddrB], vcc, 0x8000, v[vgprLocalWriteAddrB] // lwFOB = lwB1J + lwBL*MT1J + LDS_OFFSET_B=16384*2


	;; [unrolled: 1-line block ×7, first 2 shown]
s_waitcnt lgkmcnt(0)                               // wait for 124 bytes of kern args
s_mov_b64 s[sgprSrdC+0:sgprSrdC+0+1], s[sgprAddressC+0:sgprAddressC+0+1] // copy addressC
s_mov_b64 s[sgprSrdD+0:sgprSrdD+0+1], s[sgprAddressD+0:sgprAddressD+0+1] // copy addressD
s_sub_u32 s[sgprSrdA+0], s[sgprAddressA+0], 16     // pre-pad to make room for possible pointer shift
s_subb_u32 s[sgprSrdA+1], s[sgprAddressA+1], 0     // pre-pad to make room for possible pointer shift
s_sub_u32 s[sgprSrdB+0], s[sgprAddressB+0], 16     // pre-pad to make room for possible pointer shift
s_subb_u32 s[sgprSrdB+1], s[sgprAddressB+1], 0     // pre-pad to make room for possible pointer shift

.set AddressD, UNDEF
.set AddressC, UNDEF
.set AddressA, UNDEF
.set AddressB, UNDEF

/* Short circuit condition if Alpha == 0, then sumDims=0 */
v_cmp_eq_f32 vcc, s[sgprAlpha], 0.0                // Alpha == 0.0f ?
s_cbranch_vccz label_AlphaNonZero                  // branch if alpha != 0
s_mov_b32 s[sgprSizesSum+0], 0x0                   // Set summation dim=0 if Alpha == 0
label_AlphaNonZero:
s_mov_b32 s[sgprPackKForV0], 0x05040100            // half pack value 0 for v_perm_b32
s_mov_b32 s[sgprPackKForV1], 0x07060302            // half pack value 1 for v_perm_b32


	;; [unrolled: 1-line block ×3, first 2 shown]
/******************************************/
/* Begin setupNewTile, isPap=False           */
/******************************************/


/* global read addresses: work-group */

/* graWorkGroup mapping */
s_mov_b32 s75, 0x4444445L                          // magic number for WGM==30
s_mul_hi_u32 s73, s[sgprWorkGroup1], s75           // s_magic mul
s_mul_i32 s72, s[sgprWorkGroup1], s75              // s_magic mul
s_lshr_b64 s[72:73], s[72:73], 31                  // sMagicDiv
s_mul_i32 s73, s72, 30                             // quotient * non-magic divisor
s_sub_u32 s73, s[sgprWorkGroup1], s73              // WorkGroup1=remainder
s_mul_i32 s73, s73, s[sgprNumWorkGroups0]          // (wg1 % WGM)*nwg0
s_add_u32 s73, s73, s[sgprWorkGroup0]              // wgSerial = wg0 + (wg1 % WGM)*nwg1
s_cmp_ge_u32 s72, s[sgprNumFullBlocks]             // blockId >= numFullBlocks ?
s_cmov_b32 s75, s[sgprMagicNumberWgmRemainder1]    // 
s_cselect_b32 s74, s[sgprWgmRemainder1], 30        // 
s_mul_hi_u32 s3, s73, s75                          // s_magic mul
s_mul_i32 s2, s73, s75                             // s_magic mul
s_lshr_b64 s[2:3], s[2:3], 31                      // sMagicDiv
s_mul_i32 s[sgprWorkGroup1], s[sgprWorkGroup0], s74 // quotient * non-magic divisor
s_sub_u32 s[sgprWorkGroup1], s73, s[sgprWorkGroup1] // WorkGroup1=remainder
s_mul_i32 s72, s72, 30                             // blockId * WGM
s_add_u32 s[sgprWorkGroup1], s[sgprWorkGroup1], s72 // wg1 += blockId * WGM


/* global read addresses: unroll assignment a */

/* v1 */


/* global read addresses: unroll assignment b */

/* v3 */


/* global read addresses: other free assignments */

/* s[sgprWorkGroup2] */


/* global read addresses: tile offsets a */


	;; [unrolled: 1-line block ×3, first 2 shown]
/* global read addresses: tile offsets b */


	;; [unrolled: 1-line block ×3, first 2 shown]
/* global read addresses: unroll offsets a */


	;; [unrolled: 1-line block ×3, first 2 shown]
/* global read addresses: unroll offsets b */


	;; [unrolled: 1-line block ×3, first 2 shown]
/* global read addresses: final offsets a */

GLOBAL_OFFSET_A vgprGlobalReadOffsetA+0,  0,  1, 4 // gROA_0_0_0_0
s_mul_i32 s[sgprScalarGlobalReadOffsetA+0], s[sgprStrideAL], 2 // compute offset diff (scaled unrollDim)
s_lshl_b32 s[sgprScalarGlobalReadOffsetA+0], s[sgprScalarGlobalReadOffsetA+0], 0x1 // scalar offset *= bytes/element
s_mul_i32 s[sgprScalarGlobalReadOffsetA+1], s[sgprStrideAL], 4 // compute offset diff (scaled unrollDim)
s_lshl_b32 s[sgprScalarGlobalReadOffsetA+1], s[sgprScalarGlobalReadOffsetA+1], 0x1 // scalar offset *= bytes/element
	;; [unrolled: 2-line block ×7, first 2 shown]


/* global read addresses: final offsets b */

GLOBAL_OFFSET_B vgprGlobalReadOffsetB+0,  2,  3, 4 // gROB_0_0_0_0
s_mul_i32 s[sgprScalarGlobalReadOffsetB+0], s[sgprStrideBL], 2 // compute offset diff (scaled unrollDim)
s_lshl_b32 s[sgprScalarGlobalReadOffsetB+0], s[sgprScalarGlobalReadOffsetB+0], 0x1 // scalar offset *= bytes/element
s_mul_i32 s[sgprScalarGlobalReadOffsetB+1], s[sgprStrideBL], 4 // compute offset diff (scaled unrollDim)
s_lshl_b32 s[sgprScalarGlobalReadOffsetB+1], s[sgprScalarGlobalReadOffsetB+1], 0x1 // scalar offset *= bytes/element
	;; [unrolled: 2-line block ×7, first 2 shown]


/* global read addresses: addresses a */

/* max read offset = size[n] * stride[n-1] */
s_mul_hi_u32 s73, s[sgprWorkGroup0], 256           // WorkGroup[01] * MT
s_mul_i32 s72, s[sgprWorkGroup0], 256              // WorkGroup[01] * MT
s_sub_u32 s[sgprShadowLimitA+0], s[sgprTensor2dSizeA], s72 // sub tileStart
s_subb_u32 s[sgprShadowLimitA+1], s[sgprTensor2dSizeA+1], s73 // sub tileStart
s_lshl_b64 s[sgprShadowLimitA:sgprShadowLimitA+1], s[sgprShadowLimitA:sgprShadowLimitA+1], 0x1 // Set limit to use bytes
s_add_u32 s[sgprShadowLimitA+0], s[sgprShadowLimitA+0], 16 // extend limit for pre-pad
s_addc_u32 s[sgprShadowLimitA+1], s[sgprShadowLimitA+1], 0 // extend limit for pre-pad
s_cmp_eq_u32 s[sgprShadowLimitA+1], 0              // are we within 2^32?
s_cselect_b32 s[sgprSrdA+2], s[sgprShadowLimitA+0], BufferLimitA // Move shadow to real if we are within 2^32
s_mul_hi_u32 s35, s[sgprStrideAK], s[sgprWorkGroup2] // Stride*WG
s_mul_i32 s34, s[sgprStrideAK], s[sgprWorkGroup2]  // Stride*WG
s_add_u32 s72, s72, s34                            // accum wg term to tilestart
s_addc_u32 s73, s73, s35                           // accum wg term to tilestart
s_lshl_b64 s[72:73], s[72:73], 0x1                 // tileStart *= BPE
s_add_u32 s[sgprSrdA+0], s[sgprSrdA+0], s72        // SRD base = Address+ tileStart0
s_addc_u32 s[sgprSrdA+1], s[sgprSrdA+1], s73       // SRD base = Address+ tileStart1
s_mov_b32 s[sgprSrdA+3], Srd127_96                 // Set bits 127_96 in SRD


/* global read addresses: addresses b */

/* max read offset = size[n] * stride[n-1] */
s_mul_hi_u32 s73, s[sgprWorkGroup1], 256           // WorkGroup[01] * MT
s_mul_i32 s72, s[sgprWorkGroup1], 256              // WorkGroup[01] * MT
s_sub_u32 s[sgprShadowLimitB+0], s[sgprTensor2dSizeB], s72 // sub tileStart
s_subb_u32 s[sgprShadowLimitB+1], s[sgprTensor2dSizeB+1], s73 // sub tileStart
s_lshl_b64 s[sgprShadowLimitB:sgprShadowLimitB+1], s[sgprShadowLimitB:sgprShadowLimitB+1], 0x1 // Set limit to use bytes
s_add_u32 s[sgprShadowLimitB+0], s[sgprShadowLimitB+0], 16 // extend limit for pre-pad
s_addc_u32 s[sgprShadowLimitB+1], s[sgprShadowLimitB+1], 0 // extend limit for pre-pad
s_cmp_eq_u32 s[sgprShadowLimitB+1], 0              // are we within 2^32?
s_cselect_b32 s[sgprSrdB+2], s[sgprShadowLimitB+0], BufferLimitB // Move shadow to real if we are within 2^32
s_mul_hi_u32 s35, s[sgprStrideBK], s[sgprWorkGroup2] // Stride*WG
s_mul_i32 s34, s[sgprStrideBK], s[sgprWorkGroup2]  // Stride*WG
s_add_u32 s72, s72, s34                            // accum wg term to tilestart
s_addc_u32 s73, s73, s35                           // accum wg term to tilestart
s_lshl_b64 s[72:73], s[72:73], 0x1                 // tileStart *= BPE
s_add_u32 s[sgprSrdB+0], s[sgprSrdB+0], s72        // SRD base = Address+ tileStart0
s_addc_u32 s[sgprSrdB+1], s[sgprSrdB+1], s73       // SRD base = Address+ tileStart1
s_mov_b32 s[sgprSrdB+3], Srd127_96                 // Set bits 127_96 in SRD


/* global read addresses: increments a */

s_mul_i32 s[sgprGlobalReadIncsA+0], DepthU*BpeA, s[sgprStrideAL] // incrA unrollIdx)


/* global read addresses: increments b */

s_mul_i32 s[sgprGlobalReadIncsB+0], DepthU*BpeB, s[sgprStrideBL] // incrB unrollIdx)

/* declare loop num iterations */


s_add_i32 s[sgprLoopCounterL], 63, s[sgprSizesSum+0] // round up SizeSum / DepthU
s_lshr_b32 s[sgprLoopCounterL], s[sgprLoopCounterL], 6 // s[sgprLoopCounterL] = s[sgprLoopCounterL] / 64
s_mov_b32 s[sgprOrigLoopCounter], s[sgprLoopCounterL] // copy loop counter

/* local read addresses: init pointers a */


/* localReadInitPointers */

/* local read addresses: init pointers b */


/* localReadInitPointers */


/* prefetch: global -> local */

s_cmp_eq_u32 s[sgprLoopCounterL], 0                // at last iteration?
s_setprio 0                                        // optimization store
s_cbranch_scc1 ShadowInitStart_10                  // skip to ShadowInitStart iter b/c numIter==0


_buffer_load_b128 v[vgprG2LA+0:vgprG2LA+0+3], v[vgprGlobalReadOffsetA+0], s[sgprSrdA:sgprSrdA+3], 0, offen offset:0 // G -> Reg 0_0_0_0
_buffer_load_b128 v[vgprG2LA+4:vgprG2LA+4+3], v[vgprGlobalReadOffsetA+0], s[sgprSrdA:sgprSrdA+3], s[sgprScalarGlobalReadOffsetA+0], offen offset:0 // G -> Reg 0_0_1_0
_buffer_load_b128 v[vgprG2LA+8:vgprG2LA+8+3], v[vgprGlobalReadOffsetA+0], s[sgprSrdA:sgprSrdA+3], s[sgprScalarGlobalReadOffsetA+1], offen offset:0 // G -> Reg 0_0_2_0
_buffer_load_b128 v[vgprG2LA+12:vgprG2LA+12+3], v[vgprGlobalReadOffsetA+0], s[sgprSrdA:sgprSrdA+3], s[sgprScalarGlobalReadOffsetA+2], offen offset:0 // G -> Reg 0_0_3_0
_buffer_load_b128 v[vgprG2LA+16:vgprG2LA+16+3], v[vgprGlobalReadOffsetA+0], s[sgprSrdA:sgprSrdA+3], s[sgprScalarGlobalReadOffsetA+3], offen offset:0 // G -> Reg 0_0_4_0
_buffer_load_b128 v[vgprG2LA+20:vgprG2LA+20+3], v[vgprGlobalReadOffsetA+0], s[sgprSrdA:sgprSrdA+3], s[sgprScalarGlobalReadOffsetA+4], offen offset:0 // G -> Reg 0_0_5_0
_buffer_load_b128 v[vgprG2LA+24:vgprG2LA+24+3], v[vgprGlobalReadOffsetA+0], s[sgprSrdA:sgprSrdA+3], s[sgprScalarGlobalReadOffsetA+5], offen offset:0 // G -> Reg 0_0_6_0
_buffer_load_b128 v[vgprG2LA+28:vgprG2LA+28+3], v[vgprGlobalReadOffsetA+0], s[sgprSrdA:sgprSrdA+3], s[sgprScalarGlobalReadOffsetA+6], offen offset:0 // G -> Reg 0_0_7_0


_buffer_load_b128 v[vgprG2LB+0:vgprG2LB+0+3], v[vgprGlobalReadOffsetB+0], s[sgprSrdB:sgprSrdB+3], 0, offen offset:0 // G -> Reg 0_0_0_0
_buffer_load_b128 v[vgprG2LB+4:vgprG2LB+4+3], v[vgprGlobalReadOffsetB+0], s[sgprSrdB:sgprSrdB+3], s[sgprScalarGlobalReadOffsetB+0], offen offset:0 // G -> Reg 0_0_1_0
_buffer_load_b128 v[vgprG2LB+8:vgprG2LB+8+3], v[vgprGlobalReadOffsetB+0], s[sgprSrdB:sgprSrdB+3], s[sgprScalarGlobalReadOffsetB+1], offen offset:0 // G -> Reg 0_0_2_0
_buffer_load_b128 v[vgprG2LB+12:vgprG2LB+12+3], v[vgprGlobalReadOffsetB+0], s[sgprSrdB:sgprSrdB+3], s[sgprScalarGlobalReadOffsetB+2], offen offset:0 // G -> Reg 0_0_3_0
_buffer_load_b128 v[vgprG2LB+16:vgprG2LB+16+3], v[vgprGlobalReadOffsetB+0], s[sgprSrdB:sgprSrdB+3], s[sgprScalarGlobalReadOffsetB+3], offen offset:0 // G -> Reg 0_0_4_0
_buffer_load_b128 v[vgprG2LB+20:vgprG2LB+20+3], v[vgprGlobalReadOffsetB+0], s[sgprSrdB:sgprSrdB+3], s[sgprScalarGlobalReadOffsetB+4], offen offset:0 // G -> Reg 0_0_5_0
_buffer_load_b128 v[vgprG2LB+24:vgprG2LB+24+3], v[vgprGlobalReadOffsetB+0], s[sgprSrdB:sgprSrdB+3], s[sgprScalarGlobalReadOffsetB+5], offen offset:0 // G -> Reg 0_0_6_0
_buffer_load_b128 v[vgprG2LB+28:vgprG2LB+28+3], v[vgprGlobalReadOffsetB+0], s[sgprSrdB:sgprSrdB+3], s[sgprScalarGlobalReadOffsetB+6], offen offset:0 // G -> Reg 0_0_7_0


/* global read inc A loopL */
s_add_u32 s[sgprSrdA+0], s[sgprSrdA+0], s[sgprGlobalReadIncsA+0] // gra SRD += inc(lower)
s_addc_u32  s[sgprSrdA+1], s[sgprSrdA+1], 0        // gra SRD += inc(upper)
s_sub_u32 s[sgprShadowLimitA+0], s[sgprShadowLimitA+0], s[sgprGlobalReadIncsA+0] // limit -= inc)
s_subb_u32 s[sgprShadowLimitA+1], s[sgprShadowLimitA+1], 0 // limit -= inc)
s_cmp_eq_u32 s[sgprShadowLimitA+1], 0              // are we within 2^32?
s_cmov_b32 s[sgprSrdA+2], s[sgprShadowLimitA+0]    // Move shadow to real if we are within 2^32

/* global read inc B loopL */
s_add_u32 s[sgprSrdB+0], s[sgprSrdB+0], s[sgprGlobalReadIncsB+0] // gra SRD += inc(lower)
s_addc_u32  s[sgprSrdB+1], s[sgprSrdB+1], 0        // gra SRD += inc(upper)
s_sub_u32 s[sgprShadowLimitB+0], s[sgprShadowLimitB+0], s[sgprGlobalReadIncsB+0] // limit -= inc)
s_subb_u32 s[sgprShadowLimitB+1], s[sgprShadowLimitB+1], 0 // limit -= inc)
s_cmp_eq_u32 s[sgprShadowLimitB+1], 0              // are we within 2^32?
s_cmov_b32 s[sgprSrdB+2], s[sgprShadowLimitB+0]    // Move shadow to real if we are within 2^32


/******************************************/
/* End setupNewTile, isPap=False             */
/******************************************/

ShadowInitStart_10: // 

s_mov_b32 s[sgprSrdD+2], BufferOOB                 // 
s_mov_b32 s[sgprSrdD+3], Srd127_96                 // Set bits 127_96 in post-loop SRD

s_mov_b32 s[sgprSrdC+2], BufferOOB                 // 
s_mov_b32 s[sgprSrdC+3], Srd127_96                 // Set bits 127_96 in post-loop SRD


s_mul_i32 s74, MT1, s[sgprWorkGroup1]              // <- wg1*MT1
s_mul_hi_u32 s73, s74, s[sgprStrideC1J]            // CScale s74 by Stride
s_mul_i32 s72, s74, s[sgprStrideC1J]               // CScale s74 by Stride
s_lshl_b64 s[72:73], s[72:73], 1                   // scale by bpe
s_add_u32 s[sgprSrdC+0], s[sgprSrdC+0], s72        // add lo to SRD
s_addc_u32 s[sgprSrdC+1], s[sgprSrdC+1], s73       // add hi to SRD
s_mul_hi_u32 s73, s74, s[sgprStrideD1J]            // Scale s74 by Stride
s_mul_i32 s72, s74, s[sgprStrideD1J]               // Scale s74 by Stride
s_lshl_b64 s[72:73], s[72:73], 1                   // scale by bpe
s_add_u32 s[sgprSrdD+0], s[sgprSrdD+0], s72        // add lo to SRD
s_addc_u32 s[sgprSrdD+1], s[sgprSrdD+1], s73       // add hi to SRD

s_mul_hi_u32 s73, s[sgprWorkGroup2], s[sgprStrideCK] // CScale s[sgprWorkGroup2] by Stride
s_mul_i32 s72, s[sgprWorkGroup2], s[sgprStrideCK]  // CScale s[sgprWorkGroup2] by Stride
s_lshl_b64 s[72:73], s[72:73], 1                   // scale by bpe
s_add_u32 s[sgprSrdC+0], s[sgprSrdC+0], s72        // add lo to SRD
s_addc_u32 s[sgprSrdC+1], s[sgprSrdC+1], s73       // add hi to SRD
s_mul_hi_u32 s73, s[sgprWorkGroup2], s[sgprStrideDK] // Scale s[sgprWorkGroup2] by Stride
s_mul_i32 s72, s[sgprWorkGroup2], s[sgprStrideDK]  // Scale s[sgprWorkGroup2] by Stride
s_lshl_b64 s[72:73], s[72:73], 1                   // scale by bpe
s_add_u32 s[sgprSrdD+0], s[sgprSrdD+0], s72        // add lo to SRD
s_addc_u32 s[sgprSrdD+1], s[sgprSrdD+1], s73       // add hi to SRD


	;; [unrolled: 1-line block ×3, first 2 shown]
/* initC: remove C-tile 0-0 from pool */

/* initC: remove AB-tile 0-160 from pool */
v_accvgpr_write acc0, 0x0                          // initC
v_accvgpr_write acc1, 0x0                          // initC
v_accvgpr_write acc2, 0x0                          // initC
v_accvgpr_write acc3, 0x0                          // initC
v_accvgpr_write acc4, 0x0                          // initC
v_accvgpr_write acc5, 0x0                          // initC
v_accvgpr_write acc6, 0x0                          // initC
v_accvgpr_write acc7, 0x0                          // initC
v_accvgpr_write acc8, 0x0                          // initC
v_accvgpr_write acc9, 0x0                          // initC
v_accvgpr_write acc10, 0x0                         // initC
v_accvgpr_write acc11, 0x0                         // initC
v_accvgpr_write acc12, 0x0                         // initC
v_accvgpr_write acc13, 0x0                         // initC
v_accvgpr_write acc14, 0x0                         // initC
v_accvgpr_write acc15, 0x0                         // initC
v_accvgpr_write acc16, 0x0                         // initC
v_accvgpr_write acc17, 0x0                         // initC
v_accvgpr_write acc18, 0x0                         // initC
v_accvgpr_write acc19, 0x0                         // initC
v_accvgpr_write acc20, 0x0                         // initC
v_accvgpr_write acc21, 0x0                         // initC
v_accvgpr_write acc22, 0x0                         // initC
v_accvgpr_write acc23, 0x0                         // initC
v_accvgpr_write acc24, 0x0                         // initC
v_accvgpr_write acc25, 0x0                         // initC
v_accvgpr_write acc26, 0x0                         // initC
v_accvgpr_write acc27, 0x0                         // initC
v_accvgpr_write acc28, 0x0                         // initC
v_accvgpr_write acc29, 0x0                         // initC
v_accvgpr_write acc30, 0x0                         // initC
v_accvgpr_write acc31, 0x0                         // initC
v_accvgpr_write acc32, 0x0                         // initC
v_accvgpr_write acc33, 0x0                         // initC
v_accvgpr_write acc34, 0x0                         // initC
v_accvgpr_write acc35, 0x0                         // initC
v_accvgpr_write acc36, 0x0                         // initC
v_accvgpr_write acc37, 0x0                         // initC
v_accvgpr_write acc38, 0x0                         // initC
v_accvgpr_write acc39, 0x0                         // initC
v_accvgpr_write acc40, 0x0                         // initC
v_accvgpr_write acc41, 0x0                         // initC
v_accvgpr_write acc42, 0x0                         // initC
v_accvgpr_write acc43, 0x0                         // initC
v_accvgpr_write acc44, 0x0                         // initC
v_accvgpr_write acc45, 0x0                         // initC
v_accvgpr_write acc46, 0x0                         // initC
v_accvgpr_write acc47, 0x0                         // initC
v_accvgpr_write acc48, 0x0                         // initC
v_accvgpr_write acc49, 0x0                         // initC
v_accvgpr_write acc50, 0x0                         // initC
v_accvgpr_write acc51, 0x0                         // initC
v_accvgpr_write acc52, 0x0                         // initC
v_accvgpr_write acc53, 0x0                         // initC
v_accvgpr_write acc54, 0x0                         // initC
v_accvgpr_write acc55, 0x0                         // initC
v_accvgpr_write acc56, 0x0                         // initC
v_accvgpr_write acc57, 0x0                         // initC
v_accvgpr_write acc58, 0x0                         // initC
v_accvgpr_write acc59, 0x0                         // initC
v_accvgpr_write acc60, 0x0                         // initC
v_accvgpr_write acc61, 0x0                         // initC
v_accvgpr_write acc62, 0x0                         // initC
v_accvgpr_write acc63, 0x0                         // initC
v_accvgpr_write acc64, 0x0                         // initC
v_accvgpr_write acc65, 0x0                         // initC
v_accvgpr_write acc66, 0x0                         // initC
v_accvgpr_write acc67, 0x0                         // initC
v_accvgpr_write acc68, 0x0                         // initC
v_accvgpr_write acc69, 0x0                         // initC
v_accvgpr_write acc70, 0x0                         // initC
v_accvgpr_write acc71, 0x0                         // initC
v_accvgpr_write acc72, 0x0                         // initC
v_accvgpr_write acc73, 0x0                         // initC
v_accvgpr_write acc74, 0x0                         // initC
v_accvgpr_write acc75, 0x0                         // initC
v_accvgpr_write acc76, 0x0                         // initC
v_accvgpr_write acc77, 0x0                         // initC
v_accvgpr_write acc78, 0x0                         // initC
v_accvgpr_write acc79, 0x0                         // initC
v_accvgpr_write acc80, 0x0                         // initC
v_accvgpr_write acc81, 0x0                         // initC
v_accvgpr_write acc82, 0x0                         // initC
v_accvgpr_write acc83, 0x0                         // initC
v_accvgpr_write acc84, 0x0                         // initC
v_accvgpr_write acc85, 0x0                         // initC
v_accvgpr_write acc86, 0x0                         // initC
v_accvgpr_write acc87, 0x0                         // initC
v_accvgpr_write acc88, 0x0                         // initC
v_accvgpr_write acc89, 0x0                         // initC
v_accvgpr_write acc90, 0x0                         // initC
v_accvgpr_write acc91, 0x0                         // initC
v_accvgpr_write acc92, 0x0                         // initC
v_accvgpr_write acc93, 0x0                         // initC
v_accvgpr_write acc94, 0x0                         // initC
v_accvgpr_write acc95, 0x0                         // initC
v_accvgpr_write acc96, 0x0                         // initC
v_accvgpr_write acc97, 0x0                         // initC
v_accvgpr_write acc98, 0x0                         // initC
v_accvgpr_write acc99, 0x0                         // initC
v_accvgpr_write acc100, 0x0                        // initC
v_accvgpr_write acc101, 0x0                        // initC
v_accvgpr_write acc102, 0x0                        // initC
v_accvgpr_write acc103, 0x0                        // initC
v_accvgpr_write acc104, 0x0                        // initC
v_accvgpr_write acc105, 0x0                        // initC
v_accvgpr_write acc106, 0x0                        // initC
v_accvgpr_write acc107, 0x0                        // initC
v_accvgpr_write acc108, 0x0                        // initC
v_accvgpr_write acc109, 0x0                        // initC
v_accvgpr_write acc110, 0x0                        // initC
v_accvgpr_write acc111, 0x0                        // initC
v_accvgpr_write acc112, 0x0                        // initC
v_accvgpr_write acc113, 0x0                        // initC
v_accvgpr_write acc114, 0x0                        // initC
v_accvgpr_write acc115, 0x0                        // initC
v_accvgpr_write acc116, 0x0                        // initC
v_accvgpr_write acc117, 0x0                        // initC
v_accvgpr_write acc118, 0x0                        // initC
v_accvgpr_write acc119, 0x0                        // initC
v_accvgpr_write acc120, 0x0                        // initC
v_accvgpr_write acc121, 0x0                        // initC
v_accvgpr_write acc122, 0x0                        // initC
v_accvgpr_write acc123, 0x0                        // initC
v_accvgpr_write acc124, 0x0                        // initC
v_accvgpr_write acc125, 0x0                        // initC
v_accvgpr_write acc126, 0x0                        // initC
v_accvgpr_write acc127, 0x0                        // initC
v_accvgpr_write acc128, 0x0                        // initC
v_accvgpr_write acc129, 0x0                        // initC
v_accvgpr_write acc130, 0x0                        // initC
v_accvgpr_write acc131, 0x0                        // initC
v_accvgpr_write acc132, 0x0                        // initC
v_accvgpr_write acc133, 0x0                        // initC
v_accvgpr_write acc134, 0x0                        // initC
v_accvgpr_write acc135, 0x0                        // initC
v_accvgpr_write acc136, 0x0                        // initC
v_accvgpr_write acc137, 0x0                        // initC
v_accvgpr_write acc138, 0x0                        // initC
v_accvgpr_write acc139, 0x0                        // initC
v_accvgpr_write acc140, 0x0                        // initC
v_accvgpr_write acc141, 0x0                        // initC
v_accvgpr_write acc142, 0x0                        // initC
v_accvgpr_write acc143, 0x0                        // initC
v_accvgpr_write acc144, 0x0                        // initC
v_accvgpr_write acc145, 0x0                        // initC
v_accvgpr_write acc146, 0x0                        // initC
v_accvgpr_write acc147, 0x0                        // initC
v_accvgpr_write acc148, 0x0                        // initC
v_accvgpr_write acc149, 0x0                        // initC
v_accvgpr_write acc150, 0x0                        // initC
v_accvgpr_write acc151, 0x0                        // initC
v_accvgpr_write acc152, 0x0                        // initC
v_accvgpr_write acc153, 0x0                        // initC
v_accvgpr_write acc154, 0x0                        // initC
v_accvgpr_write acc155, 0x0                        // initC
v_accvgpr_write acc156, 0x0                        // initC
v_accvgpr_write acc157, 0x0                        // initC
v_accvgpr_write acc158, 0x0                        // initC
v_accvgpr_write acc159, 0x0                        // initC
v_accvgpr_write acc160, 0x0                        // initC
v_accvgpr_write acc161, 0x0                        // initC
v_accvgpr_write acc162, 0x0                        // initC
v_accvgpr_write acc163, 0x0                        // initC
v_accvgpr_write acc164, 0x0                        // initC
v_accvgpr_write acc165, 0x0                        // initC
v_accvgpr_write acc166, 0x0                        // initC
v_accvgpr_write acc167, 0x0                        // initC
v_accvgpr_write acc168, 0x0                        // initC
v_accvgpr_write acc169, 0x0                        // initC
v_accvgpr_write acc170, 0x0                        // initC
v_accvgpr_write acc171, 0x0                        // initC
v_accvgpr_write acc172, 0x0                        // initC
v_accvgpr_write acc173, 0x0                        // initC
v_accvgpr_write acc174, 0x0                        // initC
v_accvgpr_write acc175, 0x0                        // initC
v_accvgpr_write acc176, 0x0                        // initC
v_accvgpr_write acc177, 0x0                        // initC
v_accvgpr_write acc178, 0x0                        // initC
v_accvgpr_write acc179, 0x0                        // initC
v_accvgpr_write acc180, 0x0                        // initC
v_accvgpr_write acc181, 0x0                        // initC
v_accvgpr_write acc182, 0x0                        // initC
v_accvgpr_write acc183, 0x0                        // initC
v_accvgpr_write acc184, 0x0                        // initC
v_accvgpr_write acc185, 0x0                        // initC
v_accvgpr_write acc186, 0x0                        // initC
v_accvgpr_write acc187, 0x0                        // initC
v_accvgpr_write acc188, 0x0                        // initC
v_accvgpr_write acc189, 0x0                        // initC
v_accvgpr_write acc190, 0x0                        // initC
v_accvgpr_write acc191, 0x0                        // initC
v_accvgpr_write acc192, 0x0                        // initC
v_accvgpr_write acc193, 0x0                        // initC
v_accvgpr_write acc194, 0x0                        // initC
v_accvgpr_write acc195, 0x0                        // initC
v_accvgpr_write acc196, 0x0                        // initC
v_accvgpr_write acc197, 0x0                        // initC
v_accvgpr_write acc198, 0x0                        // initC
v_accvgpr_write acc199, 0x0                        // initC
v_accvgpr_write acc200, 0x0                        // initC
v_accvgpr_write acc201, 0x0                        // initC
v_accvgpr_write acc202, 0x0                        // initC
v_accvgpr_write acc203, 0x0                        // initC
v_accvgpr_write acc204, 0x0                        // initC
v_accvgpr_write acc205, 0x0                        // initC
v_accvgpr_write acc206, 0x0                        // initC
v_accvgpr_write acc207, 0x0                        // initC
v_accvgpr_write acc208, 0x0                        // initC
v_accvgpr_write acc209, 0x0                        // initC
v_accvgpr_write acc210, 0x0                        // initC
v_accvgpr_write acc211, 0x0                        // initC
v_accvgpr_write acc212, 0x0                        // initC
v_accvgpr_write acc213, 0x0                        // initC
v_accvgpr_write acc214, 0x0                        // initC
v_accvgpr_write acc215, 0x0                        // initC
v_accvgpr_write acc216, 0x0                        // initC
v_accvgpr_write acc217, 0x0                        // initC
v_accvgpr_write acc218, 0x0                        // initC
v_accvgpr_write acc219, 0x0                        // initC
v_accvgpr_write acc220, 0x0                        // initC
v_accvgpr_write acc221, 0x0                        // initC
v_accvgpr_write acc222, 0x0                        // initC
v_accvgpr_write acc223, 0x0                        // initC
v_accvgpr_write acc224, 0x0                        // initC
v_accvgpr_write acc225, 0x0                        // initC
v_accvgpr_write acc226, 0x0                        // initC
v_accvgpr_write acc227, 0x0                        // initC
v_accvgpr_write acc228, 0x0                        // initC
v_accvgpr_write acc229, 0x0                        // initC
v_accvgpr_write acc230, 0x0                        // initC
v_accvgpr_write acc231, 0x0                        // initC
v_accvgpr_write acc232, 0x0                        // initC
v_accvgpr_write acc233, 0x0                        // initC
v_accvgpr_write acc234, 0x0                        // initC
v_accvgpr_write acc235, 0x0                        // initC
v_accvgpr_write acc236, 0x0                        // initC
v_accvgpr_write acc237, 0x0                        // initC
v_accvgpr_write acc238, 0x0                        // initC
v_accvgpr_write acc239, 0x0                        // initC
v_accvgpr_write acc240, 0x0                        // initC
v_accvgpr_write acc241, 0x0                        // initC
v_accvgpr_write acc242, 0x0                        // initC
v_accvgpr_write acc243, 0x0                        // initC
v_accvgpr_write acc244, 0x0                        // initC
v_accvgpr_write acc245, 0x0                        // initC
v_accvgpr_write acc246, 0x0                        // initC
v_accvgpr_write acc247, 0x0                        // initC
v_accvgpr_write acc248, 0x0                        // initC
v_accvgpr_write acc249, 0x0                        // initC
v_accvgpr_write acc250, 0x0                        // initC
v_accvgpr_write acc251, 0x0                        // initC
v_accvgpr_write acc252, 0x0                        // initC
v_accvgpr_write acc253, 0x0                        // initC
v_accvgpr_write acc254, 0x0                        // initC
v_accvgpr_write acc255, 0x0                        // initC

s_cmp_eq_u32 s[sgprLoopCounterL], 0                // at last iteration?

/* after InitC, skip to end of prefetch last iter if numIter==0 */
s_cbranch_scc0 label_NoBranch_11                   // Only branch on scc1
s_getpc_B64 s[72:73]                               // addr of next instr
s_add_i32 s74, PrefetchGlobalLastIterEnd_5, 0x4    // target branch offset
s_add_u32 s72, s72, s74                            // add target branch offset
s_addc_u32 s73, s73, 0                             // add high and carry
s_setpc_b64 s[72:73]                               // branch to PrefetchGlobalLastIterEnd_5
label_NoBranch_11:

s_waitcnt vmcnt(0)                                 // lgkmcnt=-1 vmcnt=0 8wait for global read


/* local write a */
_ds_store_b128 v[vgprLocalWriteAddrA], v[vgprG2LA+0:vgprG2LA+0+3] offset:0 // lwoA_0_0_0_0 = (0*LSCA) + (0*LSPA)(*MT0I+PAD) = 0
_ds_store_b128 v[vgprLocalWriteAddrA], v[vgprG2LA+4:vgprG2LA+4+3] offset:1024 // lwoA_0_0_1_0 = (0*LSCA) + (1*LSPA)(*MT0I+PAD) = 1024
_ds_store_b128 v[vgprLocalWriteAddrA], v[vgprG2LA+8:vgprG2LA+8+3] offset:2048 // lwoA_0_0_2_0 = (0*LSCA) + (2*LSPA)(*MT0I+PAD) = 2048
_ds_store_b128 v[vgprLocalWriteAddrA], v[vgprG2LA+12:vgprG2LA+12+3] offset:3072 // lwoA_0_0_3_0 = (0*LSCA) + (3*LSPA)(*MT0I+PAD) = 3072
_ds_store_b128 v[vgprLocalWriteAddrA], v[vgprG2LA+16:vgprG2LA+16+3] offset:4096 // lwoA_0_0_4_0 = (0*LSCA) + (4*LSPA)(*MT0I+PAD) = 4096
_ds_store_b128 v[vgprLocalWriteAddrA], v[vgprG2LA+20:vgprG2LA+20+3] offset:5120 // lwoA_0_0_5_0 = (0*LSCA) + (5*LSPA)(*MT0I+PAD) = 5120
_ds_store_b128 v[vgprLocalWriteAddrA], v[vgprG2LA+24:vgprG2LA+24+3] offset:6144 // lwoA_0_0_6_0 = (0*LSCA) + (6*LSPA)(*MT0I+PAD) = 6144
_ds_store_b128 v[vgprLocalWriteAddrA], v[vgprG2LA+28:vgprG2LA+28+3] offset:7168 // lwoA_0_0_7_0 = (0*LSCA) + (7*LSPA)(*MT0I+PAD) = 7168

/* local write b */
_ds_store_b128 v[vgprLocalWriteAddrB], v[vgprG2LB+0:vgprG2LB+0+3] offset:0 // lwoB_0_0_0_0 = (0*LSCB) + (0*LSPB)(*MT1J+PAD) = 0
_ds_store_b128 v[vgprLocalWriteAddrB], v[vgprG2LB+4:vgprG2LB+4+3] offset:1024 // lwoB_0_0_1_0 = (0*LSCB) + (1*LSPB)(*MT1J+PAD) = 1024
_ds_store_b128 v[vgprLocalWriteAddrB], v[vgprG2LB+8:vgprG2LB+8+3] offset:2048 // lwoB_0_0_2_0 = (0*LSCB) + (2*LSPB)(*MT1J+PAD) = 2048
_ds_store_b128 v[vgprLocalWriteAddrB], v[vgprG2LB+12:vgprG2LB+12+3] offset:3072 // lwoB_0_0_3_0 = (0*LSCB) + (3*LSPB)(*MT1J+PAD) = 3072
_ds_store_b128 v[vgprLocalWriteAddrB], v[vgprG2LB+16:vgprG2LB+16+3] offset:4096 // lwoB_0_0_4_0 = (0*LSCB) + (4*LSPB)(*MT1J+PAD) = 4096
_ds_store_b128 v[vgprLocalWriteAddrB], v[vgprG2LB+20:vgprG2LB+20+3] offset:5120 // lwoB_0_0_5_0 = (0*LSCB) + (5*LSPB)(*MT1J+PAD) = 5120
_ds_store_b128 v[vgprLocalWriteAddrB], v[vgprG2LB+24:vgprG2LB+24+3] offset:6144 // lwoB_0_0_6_0 = (0*LSCB) + (6*LSPB)(*MT1J+PAD) = 6144
_ds_store_b128 v[vgprLocalWriteAddrB], v[vgprG2LB+28:vgprG2LB+28+3] offset:7168 // lwoB_0_0_7_0 = (0*LSCB) + (7*LSPB)(*MT1J+PAD) = 7168


/* local write swap a */


	;; [unrolled: 1-line block ×3, first 2 shown]
/* local write swap b */


	;; [unrolled: 1-line block ×4, first 2 shown]
s_cmp_eq_u32 s[sgprLoopCounterL] 0x1               // PGR=2 but only 1 loop
s_cbranch_scc1 label_0012                          // PGR=2 but only 1 loop


_buffer_load_b128 v[vgprG2LA+0:vgprG2LA+0+3], v[vgprGlobalReadOffsetA+0], s[sgprSrdA:sgprSrdA+3], 0, offen offset:0 // G -> Reg 0_0_0_0
_buffer_load_b128 v[vgprG2LA+4:vgprG2LA+4+3], v[vgprGlobalReadOffsetA+0], s[sgprSrdA:sgprSrdA+3], s[sgprScalarGlobalReadOffsetA+0], offen offset:0 // G -> Reg 0_0_1_0
_buffer_load_b128 v[vgprG2LA+8:vgprG2LA+8+3], v[vgprGlobalReadOffsetA+0], s[sgprSrdA:sgprSrdA+3], s[sgprScalarGlobalReadOffsetA+1], offen offset:0 // G -> Reg 0_0_2_0
_buffer_load_b128 v[vgprG2LA+12:vgprG2LA+12+3], v[vgprGlobalReadOffsetA+0], s[sgprSrdA:sgprSrdA+3], s[sgprScalarGlobalReadOffsetA+2], offen offset:0 // G -> Reg 0_0_3_0
_buffer_load_b128 v[vgprG2LA+16:vgprG2LA+16+3], v[vgprGlobalReadOffsetA+0], s[sgprSrdA:sgprSrdA+3], s[sgprScalarGlobalReadOffsetA+3], offen offset:0 // G -> Reg 0_0_4_0
_buffer_load_b128 v[vgprG2LA+20:vgprG2LA+20+3], v[vgprGlobalReadOffsetA+0], s[sgprSrdA:sgprSrdA+3], s[sgprScalarGlobalReadOffsetA+4], offen offset:0 // G -> Reg 0_0_5_0
_buffer_load_b128 v[vgprG2LA+24:vgprG2LA+24+3], v[vgprGlobalReadOffsetA+0], s[sgprSrdA:sgprSrdA+3], s[sgprScalarGlobalReadOffsetA+5], offen offset:0 // G -> Reg 0_0_6_0
_buffer_load_b128 v[vgprG2LA+28:vgprG2LA+28+3], v[vgprGlobalReadOffsetA+0], s[sgprSrdA:sgprSrdA+3], s[sgprScalarGlobalReadOffsetA+6], offen offset:0 // G -> Reg 0_0_7_0


_buffer_load_b128 v[vgprG2LB+0:vgprG2LB+0+3], v[vgprGlobalReadOffsetB+0], s[sgprSrdB:sgprSrdB+3], 0, offen offset:0 // G -> Reg 0_0_0_0
_buffer_load_b128 v[vgprG2LB+4:vgprG2LB+4+3], v[vgprGlobalReadOffsetB+0], s[sgprSrdB:sgprSrdB+3], s[sgprScalarGlobalReadOffsetB+0], offen offset:0 // G -> Reg 0_0_1_0
_buffer_load_b128 v[vgprG2LB+8:vgprG2LB+8+3], v[vgprGlobalReadOffsetB+0], s[sgprSrdB:sgprSrdB+3], s[sgprScalarGlobalReadOffsetB+1], offen offset:0 // G -> Reg 0_0_2_0
_buffer_load_b128 v[vgprG2LB+12:vgprG2LB+12+3], v[vgprGlobalReadOffsetB+0], s[sgprSrdB:sgprSrdB+3], s[sgprScalarGlobalReadOffsetB+2], offen offset:0 // G -> Reg 0_0_3_0
_buffer_load_b128 v[vgprG2LB+16:vgprG2LB+16+3], v[vgprGlobalReadOffsetB+0], s[sgprSrdB:sgprSrdB+3], s[sgprScalarGlobalReadOffsetB+3], offen offset:0 // G -> Reg 0_0_4_0
_buffer_load_b128 v[vgprG2LB+20:vgprG2LB+20+3], v[vgprGlobalReadOffsetB+0], s[sgprSrdB:sgprSrdB+3], s[sgprScalarGlobalReadOffsetB+4], offen offset:0 // G -> Reg 0_0_5_0
_buffer_load_b128 v[vgprG2LB+24:vgprG2LB+24+3], v[vgprGlobalReadOffsetB+0], s[sgprSrdB:sgprSrdB+3], s[sgprScalarGlobalReadOffsetB+5], offen offset:0 // G -> Reg 0_0_6_0
_buffer_load_b128 v[vgprG2LB+28:vgprG2LB+28+3], v[vgprGlobalReadOffsetB+0], s[sgprSrdB:sgprSrdB+3], s[sgprScalarGlobalReadOffsetB+6], offen offset:0 // G -> Reg 0_0_7_0

label_0012:                                        // 

s_waitcnt lgkmcnt(0)                               // lgkmcnt=0 vmcnt=-10prefetch wait for local write

// Skip force waitcnt0
s_barrier //


/* local read prefetch a */

_ds_load_b64 v[vgprValuA_X0_I0_D0+0:vgprValuA_X0_I0_D0+0+1], v[vgprLocalReadAddrA] offset:0 // L -> Reg lro=0 swapByteOffset=0 ti=128 vIdx=0 rIdx=0 oIdx=0 buffer=0 iui=0
_ds_load_b64 v[vgprValuA_X0_I0_D1+0:vgprValuA_X0_I0_D1+0+1], v[vgprLocalReadAddrA] offset:512 // L -> Reg lro=0 swapByteOffset=0 ti=128 vIdx=0 rIdx=1 oIdx=0 buffer=0 iui=0
_ds_load_b64 v[vgprValuA_X0_I0_D2+0:vgprValuA_X0_I0_D2+0+1], v[vgprLocalReadAddrA] offset:1024 // L -> Reg lro=0 swapByteOffset=0 ti=128 vIdx=0 rIdx=2 oIdx=0 buffer=0 iui=0
_ds_load_b64 v[vgprValuA_X0_I0_D3+0:vgprValuA_X0_I0_D3+0+1], v[vgprLocalReadAddrA] offset:1536 // L -> Reg lro=0 swapByteOffset=0 ti=128 vIdx=0 rIdx=3 oIdx=0 buffer=0 iui=0
_ds_load_b64 v[vgprValuA_X0_I0_D0+2:vgprValuA_X0_I0_D0+2+1], v[vgprLocalReadAddrA] offset:256 // L -> Reg lro=0 swapByteOffset=0 ti=128 vIdx=1 rIdx=0 oIdx=0 buffer=0 iui=0
_ds_load_b64 v[vgprValuA_X0_I0_D1+2:vgprValuA_X0_I0_D1+2+1], v[vgprLocalReadAddrA] offset:768 // L -> Reg lro=0 swapByteOffset=0 ti=128 vIdx=1 rIdx=1 oIdx=0 buffer=0 iui=0
_ds_load_b64 v[vgprValuA_X0_I0_D2+2:vgprValuA_X0_I0_D2+2+1], v[vgprLocalReadAddrA] offset:1280 // L -> Reg lro=0 swapByteOffset=0 ti=128 vIdx=1 rIdx=2 oIdx=0 buffer=0 iui=0
_ds_load_b64 v[vgprValuA_X0_I0_D3+2:vgprValuA_X0_I0_D3+2+1], v[vgprLocalReadAddrA] offset:1792 // L -> Reg lro=0 swapByteOffset=0 ti=128 vIdx=1 rIdx=3 oIdx=0 buffer=0 iui=0


/* local read prefetch b */

_ds_load_b64 v[vgprValuB_X0_I0_D0+0:vgprValuB_X0_I0_D0+0+1], v[vgprLocalReadAddrB] offset:0 // L -> Reg lro=0 swapByteOffset=0 ti=128 vIdx=0 rIdx=0 oIdx=0 buffer=0 iui=0
_ds_load_b64 v[vgprValuB_X0_I0_D1+0:vgprValuB_X0_I0_D1+0+1], v[vgprLocalReadAddrB] offset:512 // L -> Reg lro=0 swapByteOffset=0 ti=128 vIdx=0 rIdx=1 oIdx=0 buffer=0 iui=0
_ds_load_b64 v[vgprValuB_X0_I0_D2+0:vgprValuB_X0_I0_D2+0+1], v[vgprLocalReadAddrB] offset:1024 // L -> Reg lro=0 swapByteOffset=0 ti=128 vIdx=0 rIdx=2 oIdx=0 buffer=0 iui=0
_ds_load_b64 v[vgprValuB_X0_I0_D3+0:vgprValuB_X0_I0_D3+0+1], v[vgprLocalReadAddrB] offset:1536 // L -> Reg lro=0 swapByteOffset=0 ti=128 vIdx=0 rIdx=3 oIdx=0 buffer=0 iui=0
_ds_load_b64 v[vgprValuB_X0_I0_D0+2:vgprValuB_X0_I0_D0+2+1], v[vgprLocalReadAddrB] offset:256 // L -> Reg lro=0 swapByteOffset=0 ti=128 vIdx=1 rIdx=0 oIdx=0 buffer=0 iui=0
_ds_load_b64 v[vgprValuB_X0_I0_D1+2:vgprValuB_X0_I0_D1+2+1], v[vgprLocalReadAddrB] offset:768 // L -> Reg lro=0 swapByteOffset=0 ti=128 vIdx=1 rIdx=1 oIdx=0 buffer=0 iui=0
_ds_load_b64 v[vgprValuB_X0_I0_D2+2:vgprValuB_X0_I0_D2+2+1], v[vgprLocalReadAddrB] offset:1280 // L -> Reg lro=0 swapByteOffset=0 ti=128 vIdx=1 rIdx=2 oIdx=0 buffer=0 iui=0
_ds_load_b64 v[vgprValuB_X0_I0_D3+2:vgprValuB_X0_I0_D3+2+1], v[vgprLocalReadAddrB] offset:1792 // L -> Reg lro=0 swapByteOffset=0 ti=128 vIdx=1 rIdx=3 oIdx=0 buffer=0 iui=0


/* local read inc a */

/* N/A, lro->4096 */
/* self.localReadDoCntA 1 self.localReadDoCntB 1 */


/* local read inc b */

/* N/A, lro->4096 */
/* self.localReadDoCntA 1 self.localReadDoCntB 1 */


	;; [unrolled: 1-line block ×3, first 2 shown]
/******************************************/
/* Unrolled Loop(s) - Begin               */
/******************************************/

openLoopL_13:
s_cmp_eq_u32 s[sgprLoopCounterL], 0x1              // LoopCounterL < EndCounter
s_cbranch_scc1 label_0014                          // PGR=2 but only 1 loop, toPGR1
s_cmp_le_u32 s[sgprLoopCounterL], 0x2              // LoopCounterL < EndCounter
s_cbranch_scc1 LoopEndL_evenexit_4                 // do not enter LoopL
LoopBeginL_1:


/******************************************/
/* Unrolled Loop 1/2 - Begin              */
/******************************************/

label_0015: // LoopCopy1 


/* Begin Each Unroll: Check VGPR.checkin for INT8 LW */


	;; [unrolled: 1-line block ×3, first 2 shown]
/* iter 0 */

/*  grEndMfmaIndex:12, lwStartMfmaIndex:61, lwEndMfmaIndex:228  */
/*  numMfmaForLR:22, barrierMfmaIndex:233, LocalWritePerMfma:0.090 */
/*  mfmaIndex:0  */
s_waitcnt lgkmcnt(0)                               // lgkmcnt=0 vmcnt=-1wait for prior local read local write old=0, new=0 newLW=0 newLR=0
/* pack scheduling: packAIdx:2, packBIdx:2 */
v_perm_b32 v[vgprValuA_X0_I0+0], v[vgprValuA_X0_I0_D1+0], v[vgprValuA_X0_I0_D0+0], s[sgprPackKForV0] // select K=01 for vector=0
v_perm_b32 v[vgprValuA_X0_I0+1], v[vgprValuA_X0_I0_D3+0], v[vgprValuA_X0_I0_D2+0], s[sgprPackKForV0] // select K=23 for vector=0
v_perm_b32 v[vgprValuB_X0_I0+0], v[vgprValuB_X0_I0_D1+0], v[vgprValuB_X0_I0_D0+0], s[sgprPackKForV0] // select K=01 for vector=0
v_perm_b32 v[vgprValuB_X0_I0+1], v[vgprValuB_X0_I0_D3+0], v[vgprValuB_X0_I0_D2+0], s[sgprPackKForV0] // select K=23 for vector=0
v_perm_b32 v[vgprValuA_X0_I0+2], v[vgprValuA_X0_I0_D1+0], v[vgprValuA_X0_I0_D0+0], s[sgprPackKForV1] // select K=01 for vector=1
v_perm_b32 v[vgprValuA_X0_I0+3], v[vgprValuA_X0_I0_D3+0], v[vgprValuA_X0_I0_D2+0], s[sgprPackKForV1] // select K=23 for vector=1
v_mfma_f32_16x16x16_f16 a[0+0:3+0], v[vgprValuB_X0_I0+0+0+0:vgprValuB_X0_I0+0+0+0+1], v[vgprValuA_X0_I0+0+0+0:vgprValuA_X0_I0+0+0+0+1], a[0:3]
/*  mfmaIndex:1  */
_ds_load_b64 v[vgprValuA_X1_I0_D0+0:vgprValuA_X1_I0_D0+0+1], v[vgprLocalReadAddrA] offset:8192 // L -> Reg lro=4096 swapByteOffset=0 ti=128 vIdx=0 rIdx=0 oIdx=0 buffer=1 iui=0

/* global read inc A loopL */
s_add_u32 s[sgprSrdA+0], s[sgprSrdA+0], s[sgprGlobalReadIncsA+0] // gra SRD += inc(lower)
/* pack scheduling: packAIdx:4, packBIdx:2 */
v_perm_b32 v[vgprValuA_X0_I0+4], v[vgprValuA_X0_I0_D1+1], v[vgprValuA_X0_I0_D0+1], s[sgprPackKForV0] // select K=01 for vector=0
v_perm_b32 v[vgprValuA_X0_I0+5], v[vgprValuA_X0_I0_D3+1], v[vgprValuA_X0_I0_D2+1], s[sgprPackKForV0] // select K=23 for vector=0
v_mfma_f32_16x16x16_f16 a[4+0:7+0], v[vgprValuB_X0_I0+0+0+0:vgprValuB_X0_I0+0+0+0+1], v[vgprValuA_X0_I0+2+0+0:vgprValuA_X0_I0+2+0+0+1], a[4:7]
/*  mfmaIndex:2  */
_ds_load_b64 v[vgprValuA_X1_I0_D1+0:vgprValuA_X1_I0_D1+0+1], v[vgprLocalReadAddrA] offset:8704 // L -> Reg lro=4096 swapByteOffset=0 ti=128 vIdx=0 rIdx=1 oIdx=0 buffer=1 iui=0
s_addc_u32  s[sgprSrdA+1], s[sgprSrdA+1], 0        // gra SRD += inc(upper)
/* pack scheduling: packAIdx:6, packBIdx:2 */
v_perm_b32 v[vgprValuA_X0_I0+6], v[vgprValuA_X0_I0_D1+1], v[vgprValuA_X0_I0_D0+1], s[sgprPackKForV1] // select K=01 for vector=1
v_perm_b32 v[vgprValuA_X0_I0+7], v[vgprValuA_X0_I0_D3+1], v[vgprValuA_X0_I0_D2+1], s[sgprPackKForV1] // select K=23 for vector=1
v_mfma_f32_16x16x16_f16 a[8+0:11+0], v[vgprValuB_X0_I0+0+0+0:vgprValuB_X0_I0+0+0+0+1], v[vgprValuA_X0_I0+4+0+0:vgprValuA_X0_I0+4+0+0+1], a[8:11]
/*  mfmaIndex:3  */
_ds_load_b64 v[vgprValuA_X1_I0_D2+0:vgprValuA_X1_I0_D2+0+1], v[vgprLocalReadAddrA] offset:9216 // L -> Reg lro=4096 swapByteOffset=0 ti=128 vIdx=0 rIdx=2 oIdx=0 buffer=1 iui=0
s_sub_u32 s[sgprShadowLimitA+0], s[sgprShadowLimitA+0], s[sgprGlobalReadIncsA+0] // limit -= inc)
/* pack scheduling: packAIdx:8, packBIdx:2 */
v_perm_b32 v[vgprValuA_X0_I0+8], v[vgprValuA_X0_I0_D1+2], v[vgprValuA_X0_I0_D0+2], s[sgprPackKForV0] // select K=01 for vector=0
v_perm_b32 v[vgprValuA_X0_I0+9], v[vgprValuA_X0_I0_D3+2], v[vgprValuA_X0_I0_D2+2], s[sgprPackKForV0] // select K=23 for vector=0
v_mfma_f32_16x16x16_f16 a[12+0:15+0], v[vgprValuB_X0_I0+0+0+0:vgprValuB_X0_I0+0+0+0+1], v[vgprValuA_X0_I0+6+0+0:vgprValuA_X0_I0+6+0+0+1], a[12:15]
/*  mfmaIndex:4  */
_ds_load_b64 v[vgprValuA_X1_I0_D3+0:vgprValuA_X1_I0_D3+0+1], v[vgprLocalReadAddrA] offset:9728 // L -> Reg lro=4096 swapByteOffset=0 ti=128 vIdx=0 rIdx=3 oIdx=0 buffer=1 iui=0
s_subb_u32 s[sgprShadowLimitA+1], s[sgprShadowLimitA+1], 0 // limit -= inc)
/* pack scheduling: packAIdx:10, packBIdx:2 */
v_perm_b32 v[vgprValuA_X0_I0+10], v[vgprValuA_X0_I0_D1+2], v[vgprValuA_X0_I0_D0+2], s[sgprPackKForV1] // select K=01 for vector=1
v_perm_b32 v[vgprValuA_X0_I0+11], v[vgprValuA_X0_I0_D3+2], v[vgprValuA_X0_I0_D2+2], s[sgprPackKForV1] // select K=23 for vector=1
v_mfma_f32_16x16x16_f16 a[16+0:19+0], v[vgprValuB_X0_I0+0+0+0:vgprValuB_X0_I0+0+0+0+1], v[vgprValuA_X0_I0+8+0+0:vgprValuA_X0_I0+8+0+0+1], a[16:19]
/*  mfmaIndex:5  */
_ds_load_b64 v[vgprValuB_X1_I0_D0+0:vgprValuB_X1_I0_D0+0+1], v[vgprLocalReadAddrB] offset:8192 // L -> Reg lro=4096 swapByteOffset=0 ti=128 vIdx=0 rIdx=0 oIdx=0 buffer=1 iui=0
s_cmp_eq_u32 s[sgprShadowLimitA+1], 0              // are we within 2^32?
/* pack scheduling: packAIdx:12, packBIdx:2 */
v_perm_b32 v[vgprValuA_X0_I0+12], v[vgprValuA_X0_I0_D1+3], v[vgprValuA_X0_I0_D0+3], s[sgprPackKForV0] // select K=01 for vector=0
v_perm_b32 v[vgprValuA_X0_I0+13], v[vgprValuA_X0_I0_D3+3], v[vgprValuA_X0_I0_D2+3], s[sgprPackKForV0] // select K=23 for vector=0
v_mfma_f32_16x16x16_f16 a[20+0:23+0], v[vgprValuB_X0_I0+0+0+0:vgprValuB_X0_I0+0+0+0+1], v[vgprValuA_X0_I0+10+0+0:vgprValuA_X0_I0+10+0+0+1], a[20:23]
/*  mfmaIndex:6  */
_ds_load_b64 v[vgprValuB_X1_I0_D1+0:vgprValuB_X1_I0_D1+0+1], v[vgprLocalReadAddrB] offset:8704 // L -> Reg lro=4096 swapByteOffset=0 ti=128 vIdx=0 rIdx=1 oIdx=0 buffer=1 iui=0
s_cmov_b32 s[sgprSrdA+2], s[sgprShadowLimitA+0]    // Move shadow to real if we are within 2^32
/* pack scheduling: packAIdx:14, packBIdx:2 */
v_perm_b32 v[vgprValuA_X0_I0+14], v[vgprValuA_X0_I0_D1+3], v[vgprValuA_X0_I0_D0+3], s[sgprPackKForV1] // select K=01 for vector=1
v_perm_b32 v[vgprValuA_X0_I0+15], v[vgprValuA_X0_I0_D3+3], v[vgprValuA_X0_I0_D2+3], s[sgprPackKForV1] // select K=23 for vector=1
v_mfma_f32_16x16x16_f16 a[24+0:27+0], v[vgprValuB_X0_I0+0+0+0:vgprValuB_X0_I0+0+0+0+1], v[vgprValuA_X0_I0+12+0+0:vgprValuA_X0_I0+12+0+0+1], a[24:27]
/*  mfmaIndex:7  */
_ds_load_b64 v[vgprValuB_X1_I0_D2+0:vgprValuB_X1_I0_D2+0+1], v[vgprLocalReadAddrB] offset:9216 // L -> Reg lro=4096 swapByteOffset=0 ti=128 vIdx=0 rIdx=2 oIdx=0 buffer=1 iui=0

/* global read inc B loopL */
s_add_u32 s[sgprSrdB+0], s[sgprSrdB+0], s[sgprGlobalReadIncsB+0] // gra SRD += inc(lower)
/* pack scheduling: packAIdx:16, packBIdx:2 */
v_perm_b32 v[vgprValuB_X0_I0+2], v[vgprValuB_X0_I0_D1+0], v[vgprValuB_X0_I0_D0+0], s[sgprPackKForV1] // select K=01 for vector=1
v_perm_b32 v[vgprValuB_X0_I0+3], v[vgprValuB_X0_I0_D3+0], v[vgprValuB_X0_I0_D2+0], s[sgprPackKForV1] // select K=23 for vector=1
v_mfma_f32_16x16x16_f16 a[28+0:31+0], v[vgprValuB_X0_I0+0+0+0:vgprValuB_X0_I0+0+0+0+1], v[vgprValuA_X0_I0+14+0+0:vgprValuA_X0_I0+14+0+0+1], a[28:31]
/*  mfmaIndex:8  */
_ds_load_b64 v[vgprValuB_X1_I0_D3+0:vgprValuB_X1_I0_D3+0+1], v[vgprLocalReadAddrB] offset:9728 // L -> Reg lro=4096 swapByteOffset=0 ti=128 vIdx=0 rIdx=3 oIdx=0 buffer=1 iui=0
s_addc_u32  s[sgprSrdB+1], s[sgprSrdB+1], 0        // gra SRD += inc(upper)
/* pack scheduling: packAIdx:16, packBIdx:4 */
v_perm_b32 v[vgprValuB_X0_I0+4], v[vgprValuB_X0_I0_D1+1], v[vgprValuB_X0_I0_D0+1], s[sgprPackKForV0] // select K=01 for vector=0
v_perm_b32 v[vgprValuB_X0_I0+5], v[vgprValuB_X0_I0_D3+1], v[vgprValuB_X0_I0_D2+1], s[sgprPackKForV0] // select K=23 for vector=0
v_mfma_f32_16x16x16_f16 a[60+0:63+0], v[vgprValuB_X0_I0+2+0+0:vgprValuB_X0_I0+2+0+0+1], v[vgprValuA_X0_I0+14+0+0:vgprValuA_X0_I0+14+0+0+1], a[60:63]
/*  mfmaIndex:9  */
_ds_load_b64 v[vgprValuA_X1_I0_D0+2:vgprValuA_X1_I0_D0+2+1], v[vgprLocalReadAddrA] offset:8448 // L -> Reg lro=4096 swapByteOffset=0 ti=128 vIdx=1 rIdx=0 oIdx=0 buffer=1 iui=0
s_sub_u32 s[sgprShadowLimitB+0], s[sgprShadowLimitB+0], s[sgprGlobalReadIncsB+0] // limit -= inc)
/* pack scheduling: packAIdx:16, packBIdx:4 */
v_perm_b32 v[vgprValuB_X0_I0+6], v[vgprValuB_X0_I0_D1+1], v[vgprValuB_X0_I0_D0+1], s[sgprPackKForV1] // select K=01 for vector=1
v_perm_b32 v[vgprValuB_X0_I0+7], v[vgprValuB_X0_I0_D3+1], v[vgprValuB_X0_I0_D2+1], s[sgprPackKForV1] // select K=23 for vector=1
v_mfma_f32_16x16x16_f16 a[56+0:59+0], v[vgprValuB_X0_I0+2+0+0:vgprValuB_X0_I0+2+0+0+1], v[vgprValuA_X0_I0+12+0+0:vgprValuA_X0_I0+12+0+0+1], a[56:59]
/*  mfmaIndex:10  */
_ds_load_b64 v[vgprValuA_X1_I0_D1+2:vgprValuA_X1_I0_D1+2+1], v[vgprLocalReadAddrA] offset:8960 // L -> Reg lro=4096 swapByteOffset=0 ti=128 vIdx=1 rIdx=1 oIdx=0 buffer=1 iui=0
s_subb_u32 s[sgprShadowLimitB+1], s[sgprShadowLimitB+1], 0 // limit -= inc)
/* pack scheduling: packAIdx:16, packBIdx:4 */
v_perm_b32 v[vgprValuB_X0_I0+8], v[vgprValuB_X0_I0_D1+2], v[vgprValuB_X0_I0_D0+2], s[sgprPackKForV0] // select K=01 for vector=0
v_perm_b32 v[vgprValuB_X0_I0+9], v[vgprValuB_X0_I0_D3+2], v[vgprValuB_X0_I0_D2+2], s[sgprPackKForV0] // select K=23 for vector=0
v_mfma_f32_16x16x16_f16 a[52+0:55+0], v[vgprValuB_X0_I0+2+0+0:vgprValuB_X0_I0+2+0+0+1], v[vgprValuA_X0_I0+10+0+0:vgprValuA_X0_I0+10+0+0+1], a[52:55]
/*  mfmaIndex:11  */
_ds_load_b64 v[vgprValuA_X1_I0_D2+2:vgprValuA_X1_I0_D2+2+1], v[vgprLocalReadAddrA] offset:9472 // L -> Reg lro=4096 swapByteOffset=0 ti=128 vIdx=1 rIdx=2 oIdx=0 buffer=1 iui=0
s_cmp_eq_u32 s[sgprShadowLimitB+1], 0              // are we within 2^32?
/* pack scheduling: packAIdx:16, packBIdx:4 */
v_perm_b32 v[vgprValuB_X0_I0+10], v[vgprValuB_X0_I0_D1+2], v[vgprValuB_X0_I0_D0+2], s[sgprPackKForV1] // select K=01 for vector=1
v_perm_b32 v[vgprValuB_X0_I0+11], v[vgprValuB_X0_I0_D3+2], v[vgprValuB_X0_I0_D2+2], s[sgprPackKForV1] // select K=23 for vector=1
v_mfma_f32_16x16x16_f16 a[48+0:51+0], v[vgprValuB_X0_I0+2+0+0:vgprValuB_X0_I0+2+0+0+1], v[vgprValuA_X0_I0+8+0+0:vgprValuA_X0_I0+8+0+0+1], a[48:51]
/*  mfmaIndex:12  */
_ds_load_b64 v[vgprValuA_X1_I0_D3+2:vgprValuA_X1_I0_D3+2+1], v[vgprLocalReadAddrA] offset:9984 // L -> Reg lro=4096 swapByteOffset=0 ti=128 vIdx=1 rIdx=3 oIdx=0 buffer=1 iui=0
s_cmov_b32 s[sgprSrdB+2], s[sgprShadowLimitB+0]    // Move shadow to real if we are within 2^32
/* pack scheduling: packAIdx:16, packBIdx:4 */
v_perm_b32 v[vgprValuB_X0_I0+12], v[vgprValuB_X0_I0_D1+3], v[vgprValuB_X0_I0_D0+3], s[sgprPackKForV0] // select K=01 for vector=0
v_perm_b32 v[vgprValuB_X0_I0+13], v[vgprValuB_X0_I0_D3+3], v[vgprValuB_X0_I0_D2+3], s[sgprPackKForV0] // select K=23 for vector=0
v_mfma_f32_16x16x16_f16 a[44+0:47+0], v[vgprValuB_X0_I0+2+0+0:vgprValuB_X0_I0+2+0+0+1], v[vgprValuA_X0_I0+6+0+0:vgprValuA_X0_I0+6+0+0+1], a[44:47]
/*  mfmaIndex:13  */
_ds_load_b64 v[vgprValuB_X1_I0_D0+2:vgprValuB_X1_I0_D0+2+1], v[vgprLocalReadAddrB] offset:8448 // L -> Reg lro=4096 swapByteOffset=0 ti=128 vIdx=1 rIdx=0 oIdx=0 buffer=1 iui=0
/* pack scheduling: packAIdx:16, packBIdx:4 */
v_perm_b32 v[vgprValuB_X0_I0+14], v[vgprValuB_X0_I0_D1+3], v[vgprValuB_X0_I0_D0+3], s[sgprPackKForV1] // select K=01 for vector=1
v_perm_b32 v[vgprValuB_X0_I0+15], v[vgprValuB_X0_I0_D3+3], v[vgprValuB_X0_I0_D2+3], s[sgprPackKForV1] // select K=23 for vector=1
v_mfma_f32_16x16x16_f16 a[40+0:43+0], v[vgprValuB_X0_I0+2+0+0:vgprValuB_X0_I0+2+0+0+1], v[vgprValuA_X0_I0+4+0+0:vgprValuA_X0_I0+4+0+0+1], a[40:43]
/*  mfmaIndex:14  */
_ds_load_b64 v[vgprValuB_X1_I0_D1+2:vgprValuB_X1_I0_D1+2+1], v[vgprLocalReadAddrB] offset:8960 // L -> Reg lro=4096 swapByteOffset=0 ti=128 vIdx=1 rIdx=1 oIdx=0 buffer=1 iui=0
v_mfma_f32_16x16x16_f16 a[36+0:39+0], v[vgprValuB_X0_I0+2+0+0:vgprValuB_X0_I0+2+0+0+1], v[vgprValuA_X0_I0+2+0+0:vgprValuA_X0_I0+2+0+0+1], a[36:39]
/*  mfmaIndex:15  */
_ds_load_b64 v[vgprValuB_X1_I0_D2+2:vgprValuB_X1_I0_D2+2+1], v[vgprLocalReadAddrB] offset:9472 // L -> Reg lro=4096 swapByteOffset=0 ti=128 vIdx=1 rIdx=2 oIdx=0 buffer=1 iui=0
v_mfma_f32_16x16x16_f16 a[32+0:35+0], v[vgprValuB_X0_I0+2+0+0:vgprValuB_X0_I0+2+0+0+1], v[vgprValuA_X0_I0+0+0+0:vgprValuA_X0_I0+0+0+0+1], a[32:35]
/*  mfmaIndex:16  */
_ds_load_b64 v[vgprValuB_X1_I0_D3+2:vgprValuB_X1_I0_D3+2+1], v[vgprLocalReadAddrB] offset:9984 // L -> Reg lro=4096 swapByteOffset=0 ti=128 vIdx=1 rIdx=3 oIdx=0 buffer=1 iui=0
v_mfma_f32_16x16x16_f16 a[64+0:67+0], v[vgprValuB_X0_I0+4+0+0:vgprValuB_X0_I0+4+0+0+1], v[vgprValuA_X0_I0+0+0+0:vgprValuA_X0_I0+0+0+0+1], a[64:67]
/*  mfmaIndex:17  */
/* localReadsVacancy: latencyLeft 2 */
_ds_load_b64 v[vgprValuA_X2_I0_D0+0:vgprValuA_X2_I0_D0+0+1], v[vgprLocalReadAddrA] offset:16384 // L -> Reg lro=8192 swapByteOffset=0 ti=128 vIdx=0 rIdx=0 oIdx=0 buffer=2 iui=0
v_mfma_f32_16x16x16_f16 a[68+0:71+0], v[vgprValuB_X0_I0+4+0+0:vgprValuB_X0_I0+4+0+0+1], v[vgprValuA_X0_I0+2+0+0:vgprValuA_X0_I0+2+0+0+1], a[68:71]
/*  mfmaIndex:18  */
/* localReadsVacancy: latencyLeft 2 */
_ds_load_b64 v[vgprValuA_X2_I0_D1+0:vgprValuA_X2_I0_D1+0+1], v[vgprLocalReadAddrA] offset:16896 // L -> Reg lro=8192 swapByteOffset=0 ti=128 vIdx=0 rIdx=1 oIdx=0 buffer=2 iui=0
v_mfma_f32_16x16x16_f16 a[72+0:75+0], v[vgprValuB_X0_I0+4+0+0:vgprValuB_X0_I0+4+0+0+1], v[vgprValuA_X0_I0+4+0+0:vgprValuA_X0_I0+4+0+0+1], a[72:75]
/*  mfmaIndex:19  */
/* localReadsVacancy: latencyLeft 2 */
_ds_load_b64 v[vgprValuA_X2_I0_D2+0:vgprValuA_X2_I0_D2+0+1], v[vgprLocalReadAddrA] offset:17408 // L -> Reg lro=8192 swapByteOffset=0 ti=128 vIdx=0 rIdx=2 oIdx=0 buffer=2 iui=0
v_mfma_f32_16x16x16_f16 a[76+0:79+0], v[vgprValuB_X0_I0+4+0+0:vgprValuB_X0_I0+4+0+0+1], v[vgprValuA_X0_I0+6+0+0:vgprValuA_X0_I0+6+0+0+1], a[76:79]
/*  mfmaIndex:20  */
/* localReadsVacancy: latencyLeft 2 */
_ds_load_b64 v[vgprValuA_X2_I0_D3+0:vgprValuA_X2_I0_D3+0+1], v[vgprLocalReadAddrA] offset:17920 // L -> Reg lro=8192 swapByteOffset=0 ti=128 vIdx=0 rIdx=3 oIdx=0 buffer=2 iui=0
v_mfma_f32_16x16x16_f16 a[80+0:83+0], v[vgprValuB_X0_I0+4+0+0:vgprValuB_X0_I0+4+0+0+1], v[vgprValuA_X0_I0+8+0+0:vgprValuA_X0_I0+8+0+0+1], a[80:83]
/*  mfmaIndex:21  */
/* localReadsVacancy: latencyLeft 2 */
_ds_load_b64 v[vgprValuB_X2_I0_D0+0:vgprValuB_X2_I0_D0+0+1], v[vgprLocalReadAddrB] offset:16384 // L -> Reg lro=8192 swapByteOffset=0 ti=128 vIdx=0 rIdx=0 oIdx=0 buffer=2 iui=0
v_mfma_f32_16x16x16_f16 a[84+0:87+0], v[vgprValuB_X0_I0+4+0+0:vgprValuB_X0_I0+4+0+0+1], v[vgprValuA_X0_I0+10+0+0:vgprValuA_X0_I0+10+0+0+1], a[84:87]
/*  mfmaIndex:22  */
/* localReadsVacancy: latencyLeft 2 */
_ds_load_b64 v[vgprValuB_X2_I0_D1+0:vgprValuB_X2_I0_D1+0+1], v[vgprLocalReadAddrB] offset:16896 // L -> Reg lro=8192 swapByteOffset=0 ti=128 vIdx=0 rIdx=1 oIdx=0 buffer=2 iui=0
v_mfma_f32_16x16x16_f16 a[88+0:91+0], v[vgprValuB_X0_I0+4+0+0:vgprValuB_X0_I0+4+0+0+1], v[vgprValuA_X0_I0+12+0+0:vgprValuA_X0_I0+12+0+0+1], a[88:91]
/*  mfmaIndex:23  */
/* localReadsVacancy: latencyLeft 2 */
_ds_load_b64 v[vgprValuB_X2_I0_D2+0:vgprValuB_X2_I0_D2+0+1], v[vgprLocalReadAddrB] offset:17408 // L -> Reg lro=8192 swapByteOffset=0 ti=128 vIdx=0 rIdx=2 oIdx=0 buffer=2 iui=0
v_mfma_f32_16x16x16_f16 a[92+0:95+0], v[vgprValuB_X0_I0+4+0+0:vgprValuB_X0_I0+4+0+0+1], v[vgprValuA_X0_I0+14+0+0:vgprValuA_X0_I0+14+0+0+1], a[92:95]
/*  mfmaIndex:24  */
/* localReadsVacancy: latencyLeft 2 */
_ds_load_b64 v[vgprValuB_X2_I0_D3+0:vgprValuB_X2_I0_D3+0+1], v[vgprLocalReadAddrB] offset:17920 // L -> Reg lro=8192 swapByteOffset=0 ti=128 vIdx=0 rIdx=3 oIdx=0 buffer=2 iui=0
v_mfma_f32_16x16x16_f16 a[124+0:127+0], v[vgprValuB_X0_I0+6+0+0:vgprValuB_X0_I0+6+0+0+1], v[vgprValuA_X0_I0+14+0+0:vgprValuA_X0_I0+14+0+0+1], a[124:127]
/*  mfmaIndex:25  */
/* localReadsVacancy: latencyLeft 2 */
_ds_load_b64 v[vgprValuA_X2_I0_D0+2:vgprValuA_X2_I0_D0+2+1], v[vgprLocalReadAddrA] offset:16640 // L -> Reg lro=8192 swapByteOffset=0 ti=128 vIdx=1 rIdx=0 oIdx=0 buffer=2 iui=0
v_mfma_f32_16x16x16_f16 a[120+0:123+0], v[vgprValuB_X0_I0+6+0+0:vgprValuB_X0_I0+6+0+0+1], v[vgprValuA_X0_I0+12+0+0:vgprValuA_X0_I0+12+0+0+1], a[120:123]
/*  mfmaIndex:26  */
/* localReadsVacancy: latencyLeft 2 */
_ds_load_b64 v[vgprValuA_X2_I0_D1+2:vgprValuA_X2_I0_D1+2+1], v[vgprLocalReadAddrA] offset:17152 // L -> Reg lro=8192 swapByteOffset=0 ti=128 vIdx=1 rIdx=1 oIdx=0 buffer=2 iui=0
v_mfma_f32_16x16x16_f16 a[116+0:119+0], v[vgprValuB_X0_I0+6+0+0:vgprValuB_X0_I0+6+0+0+1], v[vgprValuA_X0_I0+10+0+0:vgprValuA_X0_I0+10+0+0+1], a[116:119]
/*  mfmaIndex:27  */
/* localReadsVacancy: latencyLeft 2 */
_ds_load_b64 v[vgprValuA_X2_I0_D2+2:vgprValuA_X2_I0_D2+2+1], v[vgprLocalReadAddrA] offset:17664 // L -> Reg lro=8192 swapByteOffset=0 ti=128 vIdx=1 rIdx=2 oIdx=0 buffer=2 iui=0
v_mfma_f32_16x16x16_f16 a[112+0:115+0], v[vgprValuB_X0_I0+6+0+0:vgprValuB_X0_I0+6+0+0+1], v[vgprValuA_X0_I0+8+0+0:vgprValuA_X0_I0+8+0+0+1], a[112:115]
/*  mfmaIndex:28  */
/* localReadsVacancy: latencyLeft 2 */
_ds_load_b64 v[vgprValuA_X2_I0_D3+2:vgprValuA_X2_I0_D3+2+1], v[vgprLocalReadAddrA] offset:18176 // L -> Reg lro=8192 swapByteOffset=0 ti=128 vIdx=1 rIdx=3 oIdx=0 buffer=2 iui=0
v_mfma_f32_16x16x16_f16 a[108+0:111+0], v[vgprValuB_X0_I0+6+0+0:vgprValuB_X0_I0+6+0+0+1], v[vgprValuA_X0_I0+6+0+0:vgprValuA_X0_I0+6+0+0+1], a[108:111]
/*  mfmaIndex:29  */
/* localReadsVacancy: latencyLeft 2 */
_ds_load_b64 v[vgprValuB_X2_I0_D0+2:vgprValuB_X2_I0_D0+2+1], v[vgprLocalReadAddrB] offset:16640 // L -> Reg lro=8192 swapByteOffset=0 ti=128 vIdx=1 rIdx=0 oIdx=0 buffer=2 iui=0
v_mfma_f32_16x16x16_f16 a[104+0:107+0], v[vgprValuB_X0_I0+6+0+0:vgprValuB_X0_I0+6+0+0+1], v[vgprValuA_X0_I0+4+0+0:vgprValuA_X0_I0+4+0+0+1], a[104:107]
/*  mfmaIndex:30  */
/* localReadsVacancy: latencyLeft 2 */
_ds_load_b64 v[vgprValuB_X2_I0_D1+2:vgprValuB_X2_I0_D1+2+1], v[vgprLocalReadAddrB] offset:17152 // L -> Reg lro=8192 swapByteOffset=0 ti=128 vIdx=1 rIdx=1 oIdx=0 buffer=2 iui=0
v_mfma_f32_16x16x16_f16 a[100+0:103+0], v[vgprValuB_X0_I0+6+0+0:vgprValuB_X0_I0+6+0+0+1], v[vgprValuA_X0_I0+2+0+0:vgprValuA_X0_I0+2+0+0+1], a[100:103]
/*  mfmaIndex:31  */
/* localReadsVacancy: latencyLeft 2 */
_ds_load_b64 v[vgprValuB_X2_I0_D2+2:vgprValuB_X2_I0_D2+2+1], v[vgprLocalReadAddrB] offset:17664 // L -> Reg lro=8192 swapByteOffset=0 ti=128 vIdx=1 rIdx=2 oIdx=0 buffer=2 iui=0
v_mfma_f32_16x16x16_f16 a[96+0:99+0], v[vgprValuB_X0_I0+6+0+0:vgprValuB_X0_I0+6+0+0+1], v[vgprValuA_X0_I0+0+0+0:vgprValuA_X0_I0+0+0+0+1], a[96:99]
/*  mfmaIndex:32  */
/* localReadsVacancy: latencyLeft 2 */
_ds_load_b64 v[vgprValuB_X2_I0_D3+2:vgprValuB_X2_I0_D3+2+1], v[vgprLocalReadAddrB] offset:18176 // L -> Reg lro=8192 swapByteOffset=0 ti=128 vIdx=1 rIdx=3 oIdx=0 buffer=2 iui=0
v_mfma_f32_16x16x16_f16 a[128+0:131+0], v[vgprValuB_X0_I0+8+0+0:vgprValuB_X0_I0+8+0+0+1], v[vgprValuA_X0_I0+0+0+0:vgprValuA_X0_I0+0+0+0+1], a[128:131]
/*  mfmaIndex:33  */
/* localReadsVacancy: latencyLeft 2 */
_ds_load_b64 v[vgprValuA_X3_I0_D0+0:vgprValuA_X3_I0_D0+0+1], v[vgprLocalReadAddrA] offset:24576 // L -> Reg lro=12288 swapByteOffset=0 ti=128 vIdx=0 rIdx=0 oIdx=0 buffer=3 iui=0
v_mfma_f32_16x16x16_f16 a[132+0:135+0], v[vgprValuB_X0_I0+8+0+0:vgprValuB_X0_I0+8+0+0+1], v[vgprValuA_X0_I0+2+0+0:vgprValuA_X0_I0+2+0+0+1], a[132:135]
/*  mfmaIndex:34  */
/* localReadsVacancy: latencyLeft 2 */
_ds_load_b64 v[vgprValuA_X3_I0_D1+0:vgprValuA_X3_I0_D1+0+1], v[vgprLocalReadAddrA] offset:25088 // L -> Reg lro=12288 swapByteOffset=0 ti=128 vIdx=0 rIdx=1 oIdx=0 buffer=3 iui=0
v_mfma_f32_16x16x16_f16 a[136+0:139+0], v[vgprValuB_X0_I0+8+0+0:vgprValuB_X0_I0+8+0+0+1], v[vgprValuA_X0_I0+4+0+0:vgprValuA_X0_I0+4+0+0+1], a[136:139]
/*  mfmaIndex:35  */
/* localReadsVacancy: latencyLeft 2 */
_ds_load_b64 v[vgprValuA_X3_I0_D2+0:vgprValuA_X3_I0_D2+0+1], v[vgprLocalReadAddrA] offset:25600 // L -> Reg lro=12288 swapByteOffset=0 ti=128 vIdx=0 rIdx=2 oIdx=0 buffer=3 iui=0
v_mfma_f32_16x16x16_f16 a[140+0:143+0], v[vgprValuB_X0_I0+8+0+0:vgprValuB_X0_I0+8+0+0+1], v[vgprValuA_X0_I0+6+0+0:vgprValuA_X0_I0+6+0+0+1], a[140:143]
/*  mfmaIndex:36  */
/* localReadsVacancy: latencyLeft 2 */
_ds_load_b64 v[vgprValuA_X3_I0_D3+0:vgprValuA_X3_I0_D3+0+1], v[vgprLocalReadAddrA] offset:26112 // L -> Reg lro=12288 swapByteOffset=0 ti=128 vIdx=0 rIdx=3 oIdx=0 buffer=3 iui=0
v_mfma_f32_16x16x16_f16 a[144+0:147+0], v[vgprValuB_X0_I0+8+0+0:vgprValuB_X0_I0+8+0+0+1], v[vgprValuA_X0_I0+8+0+0:vgprValuA_X0_I0+8+0+0+1], a[144:147]
/*  mfmaIndex:37  */
/* localReadsVacancy: latencyLeft 2 */
_ds_load_b64 v[vgprValuB_X3_I0_D0+0:vgprValuB_X3_I0_D0+0+1], v[vgprLocalReadAddrB] offset:24576 // L -> Reg lro=12288 swapByteOffset=0 ti=128 vIdx=0 rIdx=0 oIdx=0 buffer=3 iui=0
v_mfma_f32_16x16x16_f16 a[148+0:151+0], v[vgprValuB_X0_I0+8+0+0:vgprValuB_X0_I0+8+0+0+1], v[vgprValuA_X0_I0+10+0+0:vgprValuA_X0_I0+10+0+0+1], a[148:151]
/*  mfmaIndex:38  */
/* localReadsVacancy: latencyLeft 2 */
_ds_load_b64 v[vgprValuB_X3_I0_D1+0:vgprValuB_X3_I0_D1+0+1], v[vgprLocalReadAddrB] offset:25088 // L -> Reg lro=12288 swapByteOffset=0 ti=128 vIdx=0 rIdx=1 oIdx=0 buffer=3 iui=0
v_mfma_f32_16x16x16_f16 a[152+0:155+0], v[vgprValuB_X0_I0+8+0+0:vgprValuB_X0_I0+8+0+0+1], v[vgprValuA_X0_I0+12+0+0:vgprValuA_X0_I0+12+0+0+1], a[152:155]
/*  mfmaIndex:39  */
/* localReadsVacancy: latencyLeft 2 */
_ds_load_b64 v[vgprValuB_X3_I0_D2+0:vgprValuB_X3_I0_D2+0+1], v[vgprLocalReadAddrB] offset:25600 // L -> Reg lro=12288 swapByteOffset=0 ti=128 vIdx=0 rIdx=2 oIdx=0 buffer=3 iui=0
v_mfma_f32_16x16x16_f16 a[156+0:159+0], v[vgprValuB_X0_I0+8+0+0:vgprValuB_X0_I0+8+0+0+1], v[vgprValuA_X0_I0+14+0+0:vgprValuA_X0_I0+14+0+0+1], a[156:159]
/*  mfmaIndex:40  */
/* localReadsVacancy: latencyLeft 2 */
_ds_load_b64 v[vgprValuB_X3_I0_D3+0:vgprValuB_X3_I0_D3+0+1], v[vgprLocalReadAddrB] offset:26112 // L -> Reg lro=12288 swapByteOffset=0 ti=128 vIdx=0 rIdx=3 oIdx=0 buffer=3 iui=0
v_mfma_f32_16x16x16_f16 a[188+0:191+0], v[vgprValuB_X0_I0+10+0+0:vgprValuB_X0_I0+10+0+0+1], v[vgprValuA_X0_I0+14+0+0:vgprValuA_X0_I0+14+0+0+1], a[188:191]
/*  mfmaIndex:41  */
/* localReadsVacancy: latencyLeft 2 */
_ds_load_b64 v[vgprValuA_X3_I0_D0+2:vgprValuA_X3_I0_D0+2+1], v[vgprLocalReadAddrA] offset:24832 // L -> Reg lro=12288 swapByteOffset=0 ti=128 vIdx=1 rIdx=0 oIdx=0 buffer=3 iui=0
v_mfma_f32_16x16x16_f16 a[184+0:187+0], v[vgprValuB_X0_I0+10+0+0:vgprValuB_X0_I0+10+0+0+1], v[vgprValuA_X0_I0+12+0+0:vgprValuA_X0_I0+12+0+0+1], a[184:187]
/*  mfmaIndex:42  */
/* localReadsVacancy: latencyLeft 2 */
_ds_load_b64 v[vgprValuA_X3_I0_D1+2:vgprValuA_X3_I0_D1+2+1], v[vgprLocalReadAddrA] offset:25344 // L -> Reg lro=12288 swapByteOffset=0 ti=128 vIdx=1 rIdx=1 oIdx=0 buffer=3 iui=0
v_mfma_f32_16x16x16_f16 a[180+0:183+0], v[vgprValuB_X0_I0+10+0+0:vgprValuB_X0_I0+10+0+0+1], v[vgprValuA_X0_I0+10+0+0:vgprValuA_X0_I0+10+0+0+1], a[180:183]
/*  mfmaIndex:43  */
/* localReadsVacancy: latencyLeft 2 */
_ds_load_b64 v[vgprValuA_X3_I0_D2+2:vgprValuA_X3_I0_D2+2+1], v[vgprLocalReadAddrA] offset:25856 // L -> Reg lro=12288 swapByteOffset=0 ti=128 vIdx=1 rIdx=2 oIdx=0 buffer=3 iui=0
v_mfma_f32_16x16x16_f16 a[176+0:179+0], v[vgprValuB_X0_I0+10+0+0:vgprValuB_X0_I0+10+0+0+1], v[vgprValuA_X0_I0+8+0+0:vgprValuA_X0_I0+8+0+0+1], a[176:179]
/*  mfmaIndex:44  */
/* localReadsVacancy: latencyLeft 2 */
_ds_load_b64 v[vgprValuA_X3_I0_D3+2:vgprValuA_X3_I0_D3+2+1], v[vgprLocalReadAddrA] offset:26368 // L -> Reg lro=12288 swapByteOffset=0 ti=128 vIdx=1 rIdx=3 oIdx=0 buffer=3 iui=0
v_mfma_f32_16x16x16_f16 a[172+0:175+0], v[vgprValuB_X0_I0+10+0+0:vgprValuB_X0_I0+10+0+0+1], v[vgprValuA_X0_I0+6+0+0:vgprValuA_X0_I0+6+0+0+1], a[172:175]
/*  mfmaIndex:45  */
/* localReadsVacancy: latencyLeft 2 */
_ds_load_b64 v[vgprValuB_X3_I0_D0+2:vgprValuB_X3_I0_D0+2+1], v[vgprLocalReadAddrB] offset:24832 // L -> Reg lro=12288 swapByteOffset=0 ti=128 vIdx=1 rIdx=0 oIdx=0 buffer=3 iui=0
v_mfma_f32_16x16x16_f16 a[168+0:171+0], v[vgprValuB_X0_I0+10+0+0:vgprValuB_X0_I0+10+0+0+1], v[vgprValuA_X0_I0+4+0+0:vgprValuA_X0_I0+4+0+0+1], a[168:171]
/*  mfmaIndex:46  */
/* localReadsVacancy: latencyLeft 2 */
_ds_load_b64 v[vgprValuB_X3_I0_D1+2:vgprValuB_X3_I0_D1+2+1], v[vgprLocalReadAddrB] offset:25344 // L -> Reg lro=12288 swapByteOffset=0 ti=128 vIdx=1 rIdx=1 oIdx=0 buffer=3 iui=0
v_mfma_f32_16x16x16_f16 a[164+0:167+0], v[vgprValuB_X0_I0+10+0+0:vgprValuB_X0_I0+10+0+0+1], v[vgprValuA_X0_I0+2+0+0:vgprValuA_X0_I0+2+0+0+1], a[164:167]
/*  mfmaIndex:47  */
/* localReadsVacancy: latencyLeft 2 */
_ds_load_b64 v[vgprValuB_X3_I0_D2+2:vgprValuB_X3_I0_D2+2+1], v[vgprLocalReadAddrB] offset:25856 // L -> Reg lro=12288 swapByteOffset=0 ti=128 vIdx=1 rIdx=2 oIdx=0 buffer=3 iui=0
v_mfma_f32_16x16x16_f16 a[160+0:163+0], v[vgprValuB_X0_I0+10+0+0:vgprValuB_X0_I0+10+0+0+1], v[vgprValuA_X0_I0+0+0+0:vgprValuA_X0_I0+0+0+0+1], a[160:163]
/*  mfmaIndex:48  */
/* localReadsVacancy: latencyLeft 2 */
_ds_load_b64 v[vgprValuB_X3_I0_D3+2:vgprValuB_X3_I0_D3+2+1], v[vgprLocalReadAddrB] offset:26368 // L -> Reg lro=12288 swapByteOffset=0 ti=128 vIdx=1 rIdx=3 oIdx=0 buffer=3 iui=0
v_mfma_f32_16x16x16_f16 a[192+0:195+0], v[vgprValuB_X0_I0+12+0+0:vgprValuB_X0_I0+12+0+0+1], v[vgprValuA_X0_I0+0+0+0:vgprValuA_X0_I0+0+0+0+1], a[192:195]
/*  mfmaIndex:49  */
/* localReadsVacancy: latencyLeft 2 */
v_mfma_f32_16x16x16_f16 a[196+0:199+0], v[vgprValuB_X0_I0+12+0+0:vgprValuB_X0_I0+12+0+0+1], v[vgprValuA_X0_I0+2+0+0:vgprValuA_X0_I0+2+0+0+1], a[196:199]
/*  mfmaIndex:50  */
/* localReadsVacancy: latencyLeft 2 */
	;; [unrolled: 3-line block ×12, first 2 shown]
/* 1 LDS buffer: read-sync-write */
s_waitcnt lgkmcnt(0)                               // 
s_barrier                                          // 
v_mfma_f32_16x16x16_f16 a[236+0:239+0], v[vgprValuB_X0_I0+14+0+0:vgprValuB_X0_I0+14+0+0+1], v[vgprValuA_X0_I0+6+0+0:vgprValuA_X0_I0+6+0+0+1], a[236:239]
/*  mfmaIndex:61  */
s_setprio 3                                        // store optimization
/* sched write - iter 0 writesPerItem=1 */
s_waitcnt vmcnt(0)                                 // lgkmcnt=-1 vmcnt=0wait for global read before writing to local
_ds_store_b128 v[vgprLocalWriteAddrA], v[vgprG2LA+0:vgprG2LA+0+3] offset:0 // lwoA_0_0_0_0 = (0*LSCA) + (0*LSPA)(*MT0I+PAD) = 0
v_mfma_f32_16x16x16_f16 a[232+0:235+0], v[vgprValuB_X0_I0+14+0+0:vgprValuB_X0_I0+14+0+0+1], v[vgprValuA_X0_I0+4+0+0:vgprValuA_X0_I0+4+0+0+1], a[232:235]
/*  mfmaIndex:62  */
_buffer_load_b128 v[vgprG2LA+0:vgprG2LA+0+3], v[vgprGlobalReadOffsetA+0], s[sgprSrdA:sgprSrdA+3], 0, offen offset:0 // G -> Reg 0_0_0_0
v_mfma_f32_16x16x16_f16 a[228+0:231+0], v[vgprValuB_X0_I0+14+0+0:vgprValuB_X0_I0+14+0+0+1], v[vgprValuA_X0_I0+2+0+0:vgprValuA_X0_I0+2+0+0+1], a[228:231]
/*  mfmaIndex:63  */
v_mfma_f32_16x16x16_f16 a[224+0:227+0], v[vgprValuB_X0_I0+14+0+0:vgprValuB_X0_I0+14+0+0+1], v[vgprValuA_X0_I0+0+0+0:vgprValuA_X0_I0+0+0+0+1], a[224:227]
/* numPrefetchIter=0 */
/* dataAtIterA=-1 numReadsIterA=1 skipReadsIterA=1 readsPerIterA=8 */
/* dataAtIterB=-1 numReadsIterB=1 skipReadsIterB=1 readsPerIterB=8 */


/* iter 1 */

/*  grEndMfmaIndex:12, lwStartMfmaIndex:61, lwEndMfmaIndex:228  */
/*  numMfmaForLR:22, barrierMfmaIndex:233, LocalWritePerMfma:0.090 */
/*  mfmaIndex:64  */
/* pack scheduling: packAIdx:2, packBIdx:2 */
v_perm_b32 v[vgprValuA_X1_I0+0], v[vgprValuA_X1_I0_D1+0], v[vgprValuA_X1_I0_D0+0], s[sgprPackKForV0] // select K=01 for vector=0
v_perm_b32 v[vgprValuA_X1_I0+1], v[vgprValuA_X1_I0_D3+0], v[vgprValuA_X1_I0_D2+0], s[sgprPackKForV0] // select K=23 for vector=0
v_perm_b32 v[vgprValuB_X1_I0+0], v[vgprValuB_X1_I0_D1+0], v[vgprValuB_X1_I0_D0+0], s[sgprPackKForV0] // select K=01 for vector=0
v_perm_b32 v[vgprValuB_X1_I0+1], v[vgprValuB_X1_I0_D3+0], v[vgprValuB_X1_I0_D2+0], s[sgprPackKForV0] // select K=23 for vector=0
v_perm_b32 v[vgprValuA_X1_I0+2], v[vgprValuA_X1_I0_D1+0], v[vgprValuA_X1_I0_D0+0], s[sgprPackKForV1] // select K=01 for vector=1
v_perm_b32 v[vgprValuA_X1_I0+3], v[vgprValuA_X1_I0_D3+0], v[vgprValuA_X1_I0_D2+0], s[sgprPackKForV1] // select K=23 for vector=1
v_mfma_f32_16x16x16_f16 a[0+0:3+0], v[vgprValuB_X1_I0+0+0+0:vgprValuB_X1_I0+0+0+0+1], v[vgprValuA_X1_I0+0+0+0:vgprValuA_X1_I0+0+0+0+1], a[0:3]
/*  mfmaIndex:65  */
/* pack scheduling: packAIdx:4, packBIdx:2 */
v_perm_b32 v[vgprValuA_X1_I0+4], v[vgprValuA_X1_I0_D1+1], v[vgprValuA_X1_I0_D0+1], s[sgprPackKForV0] // select K=01 for vector=0
v_perm_b32 v[vgprValuA_X1_I0+5], v[vgprValuA_X1_I0_D3+1], v[vgprValuA_X1_I0_D2+1], s[sgprPackKForV0] // select K=23 for vector=0
v_mfma_f32_16x16x16_f16 a[4+0:7+0], v[vgprValuB_X1_I0+0+0+0:vgprValuB_X1_I0+0+0+0+1], v[vgprValuA_X1_I0+2+0+0:vgprValuA_X1_I0+2+0+0+1], a[4:7]
/*  mfmaIndex:66  */
/* pack scheduling: packAIdx:6, packBIdx:2 */
v_perm_b32 v[vgprValuA_X1_I0+6], v[vgprValuA_X1_I0_D1+1], v[vgprValuA_X1_I0_D0+1], s[sgprPackKForV1] // select K=01 for vector=1
v_perm_b32 v[vgprValuA_X1_I0+7], v[vgprValuA_X1_I0_D3+1], v[vgprValuA_X1_I0_D2+1], s[sgprPackKForV1] // select K=23 for vector=1
v_mfma_f32_16x16x16_f16 a[8+0:11+0], v[vgprValuB_X1_I0+0+0+0:vgprValuB_X1_I0+0+0+0+1], v[vgprValuA_X1_I0+4+0+0:vgprValuA_X1_I0+4+0+0+1], a[8:11]
/*  mfmaIndex:67  */
/* pack scheduling: packAIdx:8, packBIdx:2 */
v_perm_b32 v[vgprValuA_X1_I0+8], v[vgprValuA_X1_I0_D1+2], v[vgprValuA_X1_I0_D0+2], s[sgprPackKForV0] // select K=01 for vector=0
v_perm_b32 v[vgprValuA_X1_I0+9], v[vgprValuA_X1_I0_D3+2], v[vgprValuA_X1_I0_D2+2], s[sgprPackKForV0] // select K=23 for vector=0
v_mfma_f32_16x16x16_f16 a[12+0:15+0], v[vgprValuB_X1_I0+0+0+0:vgprValuB_X1_I0+0+0+0+1], v[vgprValuA_X1_I0+6+0+0:vgprValuA_X1_I0+6+0+0+1], a[12:15]
/*  mfmaIndex:68  */
/* pack scheduling: packAIdx:10, packBIdx:2 */
	;; [unrolled: 10-line block ×3, first 2 shown]
v_perm_b32 v[vgprValuA_X1_I0+14], v[vgprValuA_X1_I0_D1+3], v[vgprValuA_X1_I0_D0+3], s[sgprPackKForV1] // select K=01 for vector=1
v_perm_b32 v[vgprValuA_X1_I0+15], v[vgprValuA_X1_I0_D3+3], v[vgprValuA_X1_I0_D2+3], s[sgprPackKForV1] // select K=23 for vector=1
v_mfma_f32_16x16x16_f16 a[24+0:27+0], v[vgprValuB_X1_I0+0+0+0:vgprValuB_X1_I0+0+0+0+1], v[vgprValuA_X1_I0+12+0+0:vgprValuA_X1_I0+12+0+0+1], a[24:27]
/*  mfmaIndex:71  */
/* pack scheduling: packAIdx:16, packBIdx:2 */
v_perm_b32 v[vgprValuB_X1_I0+2], v[vgprValuB_X1_I0_D1+0], v[vgprValuB_X1_I0_D0+0], s[sgprPackKForV1] // select K=01 for vector=1
v_perm_b32 v[vgprValuB_X1_I0+3], v[vgprValuB_X1_I0_D3+0], v[vgprValuB_X1_I0_D2+0], s[sgprPackKForV1] // select K=23 for vector=1
v_mfma_f32_16x16x16_f16 a[28+0:31+0], v[vgprValuB_X1_I0+0+0+0:vgprValuB_X1_I0+0+0+0+1], v[vgprValuA_X1_I0+14+0+0:vgprValuA_X1_I0+14+0+0+1], a[28:31]
/*  mfmaIndex:72  */
/* sched write - iter 1 writesPerItem=1 */
s_waitcnt vmcnt(0)                                 // lgkmcnt=-1 vmcnt=0wait for global read before writing to local
_ds_store_b128 v[vgprLocalWriteAddrA], v[vgprG2LA+4:vgprG2LA+4+3] offset:1024 // lwoA_0_0_1_0 = (0*LSCA) + (1*LSPA)(*MT0I+PAD) = 1024
/* pack scheduling: packAIdx:16, packBIdx:4 */
v_perm_b32 v[vgprValuB_X1_I0+4], v[vgprValuB_X1_I0_D1+1], v[vgprValuB_X1_I0_D0+1], s[sgprPackKForV0] // select K=01 for vector=0
v_perm_b32 v[vgprValuB_X1_I0+5], v[vgprValuB_X1_I0_D3+1], v[vgprValuB_X1_I0_D2+1], s[sgprPackKForV0] // select K=23 for vector=0
v_mfma_f32_16x16x16_f16 a[60+0:63+0], v[vgprValuB_X1_I0+2+0+0:vgprValuB_X1_I0+2+0+0+1], v[vgprValuA_X1_I0+14+0+0:vgprValuA_X1_I0+14+0+0+1], a[60:63]
/*  mfmaIndex:73  */
_buffer_load_b128 v[vgprG2LA+4:vgprG2LA+4+3], v[vgprGlobalReadOffsetA+0], s[sgprSrdA:sgprSrdA+3], s[sgprScalarGlobalReadOffsetA+0], offen offset:0 // G -> Reg 0_0_1_0
/* pack scheduling: packAIdx:16, packBIdx:4 */
v_perm_b32 v[vgprValuB_X1_I0+6], v[vgprValuB_X1_I0_D1+1], v[vgprValuB_X1_I0_D0+1], s[sgprPackKForV1] // select K=01 for vector=1
v_perm_b32 v[vgprValuB_X1_I0+7], v[vgprValuB_X1_I0_D3+1], v[vgprValuB_X1_I0_D2+1], s[sgprPackKForV1] // select K=23 for vector=1
v_mfma_f32_16x16x16_f16 a[56+0:59+0], v[vgprValuB_X1_I0+2+0+0:vgprValuB_X1_I0+2+0+0+1], v[vgprValuA_X1_I0+12+0+0:vgprValuA_X1_I0+12+0+0+1], a[56:59]
/*  mfmaIndex:74  */
/* pack scheduling: packAIdx:16, packBIdx:4 */
v_perm_b32 v[vgprValuB_X1_I0+8], v[vgprValuB_X1_I0_D1+2], v[vgprValuB_X1_I0_D0+2], s[sgprPackKForV0] // select K=01 for vector=0
v_perm_b32 v[vgprValuB_X1_I0+9], v[vgprValuB_X1_I0_D3+2], v[vgprValuB_X1_I0_D2+2], s[sgprPackKForV0] // select K=23 for vector=0
v_mfma_f32_16x16x16_f16 a[52+0:55+0], v[vgprValuB_X1_I0+2+0+0:vgprValuB_X1_I0+2+0+0+1], v[vgprValuA_X1_I0+10+0+0:vgprValuA_X1_I0+10+0+0+1], a[52:55]
/*  mfmaIndex:75  */
/* pack scheduling: packAIdx:16, packBIdx:4 */
v_perm_b32 v[vgprValuB_X1_I0+10], v[vgprValuB_X1_I0_D1+2], v[vgprValuB_X1_I0_D0+2], s[sgprPackKForV1] // select K=01 for vector=1
v_perm_b32 v[vgprValuB_X1_I0+11], v[vgprValuB_X1_I0_D3+2], v[vgprValuB_X1_I0_D2+2], s[sgprPackKForV1] // select K=23 for vector=1
v_mfma_f32_16x16x16_f16 a[48+0:51+0], v[vgprValuB_X1_I0+2+0+0:vgprValuB_X1_I0+2+0+0+1], v[vgprValuA_X1_I0+8+0+0:vgprValuA_X1_I0+8+0+0+1], a[48:51]
/*  mfmaIndex:76  */
/* pack scheduling: packAIdx:16, packBIdx:4 */
v_perm_b32 v[vgprValuB_X1_I0+12], v[vgprValuB_X1_I0_D1+3], v[vgprValuB_X1_I0_D0+3], s[sgprPackKForV0] // select K=01 for vector=0
v_perm_b32 v[vgprValuB_X1_I0+13], v[vgprValuB_X1_I0_D3+3], v[vgprValuB_X1_I0_D2+3], s[sgprPackKForV0] // select K=23 for vector=0
v_mfma_f32_16x16x16_f16 a[44+0:47+0], v[vgprValuB_X1_I0+2+0+0:vgprValuB_X1_I0+2+0+0+1], v[vgprValuA_X1_I0+6+0+0:vgprValuA_X1_I0+6+0+0+1], a[44:47]
/*  mfmaIndex:77  */
/* pack scheduling: packAIdx:16, packBIdx:4 */
v_perm_b32 v[vgprValuB_X1_I0+14], v[vgprValuB_X1_I0_D1+3], v[vgprValuB_X1_I0_D0+3], s[sgprPackKForV1] // select K=01 for vector=1
v_perm_b32 v[vgprValuB_X1_I0+15], v[vgprValuB_X1_I0_D3+3], v[vgprValuB_X1_I0_D2+3], s[sgprPackKForV1] // select K=23 for vector=1
v_mfma_f32_16x16x16_f16 a[40+0:43+0], v[vgprValuB_X1_I0+2+0+0:vgprValuB_X1_I0+2+0+0+1], v[vgprValuA_X1_I0+4+0+0:vgprValuA_X1_I0+4+0+0+1], a[40:43]
/*  mfmaIndex:78  */
v_mfma_f32_16x16x16_f16 a[36+0:39+0], v[vgprValuB_X1_I0+2+0+0:vgprValuB_X1_I0+2+0+0+1], v[vgprValuA_X1_I0+2+0+0:vgprValuA_X1_I0+2+0+0+1], a[36:39]
/*  mfmaIndex:79  */
v_mfma_f32_16x16x16_f16 a[32+0:35+0], v[vgprValuB_X1_I0+2+0+0:vgprValuB_X1_I0+2+0+0+1], v[vgprValuA_X1_I0+0+0+0:vgprValuA_X1_I0+0+0+0+1], a[32:35]
/*  mfmaIndex:80  */
v_mfma_f32_16x16x16_f16 a[64+0:67+0], v[vgprValuB_X1_I0+4+0+0:vgprValuB_X1_I0+4+0+0+1], v[vgprValuA_X1_I0+0+0+0:vgprValuA_X1_I0+0+0+0+1], a[64:67]
/*  mfmaIndex:81  */
v_mfma_f32_16x16x16_f16 a[68+0:71+0], v[vgprValuB_X1_I0+4+0+0:vgprValuB_X1_I0+4+0+0+1], v[vgprValuA_X1_I0+2+0+0:vgprValuA_X1_I0+2+0+0+1], a[68:71]
/*  mfmaIndex:82  */
v_mfma_f32_16x16x16_f16 a[72+0:75+0], v[vgprValuB_X1_I0+4+0+0:vgprValuB_X1_I0+4+0+0+1], v[vgprValuA_X1_I0+4+0+0:vgprValuA_X1_I0+4+0+0+1], a[72:75]
/*  mfmaIndex:83  */
/* sched write - iter 1 writesPerItem=1 */
s_waitcnt vmcnt(0)                                 // lgkmcnt=-1 vmcnt=0wait for global read before writing to local
_ds_store_b128 v[vgprLocalWriteAddrA], v[vgprG2LA+8:vgprG2LA+8+3] offset:2048 // lwoA_0_0_2_0 = (0*LSCA) + (2*LSPA)(*MT0I+PAD) = 2048
v_mfma_f32_16x16x16_f16 a[76+0:79+0], v[vgprValuB_X1_I0+4+0+0:vgprValuB_X1_I0+4+0+0+1], v[vgprValuA_X1_I0+6+0+0:vgprValuA_X1_I0+6+0+0+1], a[76:79]
/*  mfmaIndex:84  */
_buffer_load_b128 v[vgprG2LA+8:vgprG2LA+8+3], v[vgprGlobalReadOffsetA+0], s[sgprSrdA:sgprSrdA+3], s[sgprScalarGlobalReadOffsetA+1], offen offset:0 // G -> Reg 0_0_2_0
v_mfma_f32_16x16x16_f16 a[80+0:83+0], v[vgprValuB_X1_I0+4+0+0:vgprValuB_X1_I0+4+0+0+1], v[vgprValuA_X1_I0+8+0+0:vgprValuA_X1_I0+8+0+0+1], a[80:83]
/*  mfmaIndex:85  */
v_mfma_f32_16x16x16_f16 a[84+0:87+0], v[vgprValuB_X1_I0+4+0+0:vgprValuB_X1_I0+4+0+0+1], v[vgprValuA_X1_I0+10+0+0:vgprValuA_X1_I0+10+0+0+1], a[84:87]
/*  mfmaIndex:86  */
	;; [unrolled: 2-line block ×10, first 2 shown]
/* sched write - iter 1 writesPerItem=1 */
s_waitcnt vmcnt(0)                                 // lgkmcnt=-1 vmcnt=0wait for global read before writing to local
_ds_store_b128 v[vgprLocalWriteAddrA], v[vgprG2LA+12:vgprG2LA+12+3] offset:3072 // lwoA_0_0_3_0 = (0*LSCA) + (3*LSPA)(*MT0I+PAD) = 3072
v_mfma_f32_16x16x16_f16 a[100+0:103+0], v[vgprValuB_X1_I0+6+0+0:vgprValuB_X1_I0+6+0+0+1], v[vgprValuA_X1_I0+2+0+0:vgprValuA_X1_I0+2+0+0+1], a[100:103]
/*  mfmaIndex:95  */
_buffer_load_b128 v[vgprG2LA+12:vgprG2LA+12+3], v[vgprGlobalReadOffsetA+0], s[sgprSrdA:sgprSrdA+3], s[sgprScalarGlobalReadOffsetA+2], offen offset:0 // G -> Reg 0_0_3_0
v_mfma_f32_16x16x16_f16 a[96+0:99+0], v[vgprValuB_X1_I0+6+0+0:vgprValuB_X1_I0+6+0+0+1], v[vgprValuA_X1_I0+0+0+0:vgprValuA_X1_I0+0+0+0+1], a[96:99]
/*  mfmaIndex:96  */
v_mfma_f32_16x16x16_f16 a[128+0:131+0], v[vgprValuB_X1_I0+8+0+0:vgprValuB_X1_I0+8+0+0+1], v[vgprValuA_X1_I0+0+0+0:vgprValuA_X1_I0+0+0+0+1], a[128:131]
/*  mfmaIndex:97  */
v_mfma_f32_16x16x16_f16 a[132+0:135+0], v[vgprValuB_X1_I0+8+0+0:vgprValuB_X1_I0+8+0+0+1], v[vgprValuA_X1_I0+2+0+0:vgprValuA_X1_I0+2+0+0+1], a[132:135]
/*  mfmaIndex:98  */
v_mfma_f32_16x16x16_f16 a[136+0:139+0], v[vgprValuB_X1_I0+8+0+0:vgprValuB_X1_I0+8+0+0+1], v[vgprValuA_X1_I0+4+0+0:vgprValuA_X1_I0+4+0+0+1], a[136:139]
/*  mfmaIndex:99  */
v_mfma_f32_16x16x16_f16 a[140+0:143+0], v[vgprValuB_X1_I0+8+0+0:vgprValuB_X1_I0+8+0+0+1], v[vgprValuA_X1_I0+6+0+0:vgprValuA_X1_I0+6+0+0+1], a[140:143]
/*  mfmaIndex:100  */
v_mfma_f32_16x16x16_f16 a[144+0:147+0], v[vgprValuB_X1_I0+8+0+0:vgprValuB_X1_I0+8+0+0+1], v[vgprValuA_X1_I0+8+0+0:vgprValuA_X1_I0+8+0+0+1], a[144:147]
/*  mfmaIndex:101  */
v_mfma_f32_16x16x16_f16 a[148+0:151+0], v[vgprValuB_X1_I0+8+0+0:vgprValuB_X1_I0+8+0+0+1], v[vgprValuA_X1_I0+10+0+0:vgprValuA_X1_I0+10+0+0+1], a[148:151]
/*  mfmaIndex:102  */
v_mfma_f32_16x16x16_f16 a[152+0:155+0], v[vgprValuB_X1_I0+8+0+0:vgprValuB_X1_I0+8+0+0+1], v[vgprValuA_X1_I0+12+0+0:vgprValuA_X1_I0+12+0+0+1], a[152:155]
/*  mfmaIndex:103  */
v_mfma_f32_16x16x16_f16 a[156+0:159+0], v[vgprValuB_X1_I0+8+0+0:vgprValuB_X1_I0+8+0+0+1], v[vgprValuA_X1_I0+14+0+0:vgprValuA_X1_I0+14+0+0+1], a[156:159]
/*  mfmaIndex:104  */
v_mfma_f32_16x16x16_f16 a[188+0:191+0], v[vgprValuB_X1_I0+10+0+0:vgprValuB_X1_I0+10+0+0+1], v[vgprValuA_X1_I0+14+0+0:vgprValuA_X1_I0+14+0+0+1], a[188:191]
/*  mfmaIndex:105  */
/* sched write - iter 1 writesPerItem=1 */
s_waitcnt vmcnt(0)                                 // lgkmcnt=-1 vmcnt=0wait for global read before writing to local
_ds_store_b128 v[vgprLocalWriteAddrA], v[vgprG2LA+16:vgprG2LA+16+3] offset:4096 // lwoA_0_0_4_0 = (0*LSCA) + (4*LSPA)(*MT0I+PAD) = 4096
v_mfma_f32_16x16x16_f16 a[184+0:187+0], v[vgprValuB_X1_I0+10+0+0:vgprValuB_X1_I0+10+0+0+1], v[vgprValuA_X1_I0+12+0+0:vgprValuA_X1_I0+12+0+0+1], a[184:187]
/*  mfmaIndex:106  */
_buffer_load_b128 v[vgprG2LA+16:vgprG2LA+16+3], v[vgprGlobalReadOffsetA+0], s[sgprSrdA:sgprSrdA+3], s[sgprScalarGlobalReadOffsetA+3], offen offset:0 // G -> Reg 0_0_4_0
v_mfma_f32_16x16x16_f16 a[180+0:183+0], v[vgprValuB_X1_I0+10+0+0:vgprValuB_X1_I0+10+0+0+1], v[vgprValuA_X1_I0+10+0+0:vgprValuA_X1_I0+10+0+0+1], a[180:183]
/*  mfmaIndex:107  */
v_mfma_f32_16x16x16_f16 a[176+0:179+0], v[vgprValuB_X1_I0+10+0+0:vgprValuB_X1_I0+10+0+0+1], v[vgprValuA_X1_I0+8+0+0:vgprValuA_X1_I0+8+0+0+1], a[176:179]
/*  mfmaIndex:108  */
	;; [unrolled: 2-line block ×10, first 2 shown]
/* sched write - iter 1 writesPerItem=1 */
s_waitcnt vmcnt(0)                                 // lgkmcnt=-1 vmcnt=0wait for global read before writing to local
_ds_store_b128 v[vgprLocalWriteAddrA], v[vgprG2LA+20:vgprG2LA+20+3] offset:5120 // lwoA_0_0_5_0 = (0*LSCA) + (5*LSPA)(*MT0I+PAD) = 5120
v_mfma_f32_16x16x16_f16 a[208+0:211+0], v[vgprValuB_X1_I0+12+0+0:vgprValuB_X1_I0+12+0+0+1], v[vgprValuA_X1_I0+8+0+0:vgprValuA_X1_I0+8+0+0+1], a[208:211]
/*  mfmaIndex:117  */
_buffer_load_b128 v[vgprG2LA+20:vgprG2LA+20+3], v[vgprGlobalReadOffsetA+0], s[sgprSrdA:sgprSrdA+3], s[sgprScalarGlobalReadOffsetA+4], offen offset:0 // G -> Reg 0_0_5_0
v_mfma_f32_16x16x16_f16 a[212+0:215+0], v[vgprValuB_X1_I0+12+0+0:vgprValuB_X1_I0+12+0+0+1], v[vgprValuA_X1_I0+10+0+0:vgprValuA_X1_I0+10+0+0+1], a[212:215]
/*  mfmaIndex:118  */
v_mfma_f32_16x16x16_f16 a[216+0:219+0], v[vgprValuB_X1_I0+12+0+0:vgprValuB_X1_I0+12+0+0+1], v[vgprValuA_X1_I0+12+0+0:vgprValuA_X1_I0+12+0+0+1], a[216:219]
/*  mfmaIndex:119  */
	;; [unrolled: 2-line block ×10, first 2 shown]
/* sched write - iter 1 writesPerItem=1 */
s_waitcnt vmcnt(0)                                 // lgkmcnt=-1 vmcnt=0wait for global read before writing to local
_ds_store_b128 v[vgprLocalWriteAddrA], v[vgprG2LA+24:vgprG2LA+24+3] offset:6144 // lwoA_0_0_6_0 = (0*LSCA) + (6*LSPA)(*MT0I+PAD) = 6144
v_mfma_f32_16x16x16_f16 a[224+0:227+0], v[vgprValuB_X1_I0+14+0+0:vgprValuB_X1_I0+14+0+0+1], v[vgprValuA_X1_I0+0+0+0:vgprValuA_X1_I0+0+0+0+1], a[224:227]


/* iter 2 (reset local read pointers iteration)  (swap local read pointers iteration)  */

/*  grEndMfmaIndex:12, lwStartMfmaIndex:61, lwEndMfmaIndex:228  */
/*  numMfmaForLR:22, barrierMfmaIndex:233, LocalWritePerMfma:0.090 */
/*  mfmaIndex:128  */
_buffer_load_b128 v[vgprG2LA+24:vgprG2LA+24+3], v[vgprGlobalReadOffsetA+0], s[sgprSrdA:sgprSrdA+3], s[sgprScalarGlobalReadOffsetA+5], offen offset:0 // G -> Reg 0_0_6_0
/* pack scheduling: packAIdx:2, packBIdx:2 */
v_perm_b32 v[vgprValuA_X2_I0+0], v[vgprValuA_X2_I0_D1+0], v[vgprValuA_X2_I0_D0+0], s[sgprPackKForV0] // select K=01 for vector=0
v_perm_b32 v[vgprValuA_X2_I0+1], v[vgprValuA_X2_I0_D3+0], v[vgprValuA_X2_I0_D2+0], s[sgprPackKForV0] // select K=23 for vector=0
v_perm_b32 v[vgprValuB_X2_I0+0], v[vgprValuB_X2_I0_D1+0], v[vgprValuB_X2_I0_D0+0], s[sgprPackKForV0] // select K=01 for vector=0
v_perm_b32 v[vgprValuB_X2_I0+1], v[vgprValuB_X2_I0_D3+0], v[vgprValuB_X2_I0_D2+0], s[sgprPackKForV0] // select K=23 for vector=0
v_perm_b32 v[vgprValuA_X2_I0+2], v[vgprValuA_X2_I0_D1+0], v[vgprValuA_X2_I0_D0+0], s[sgprPackKForV1] // select K=01 for vector=1
v_perm_b32 v[vgprValuA_X2_I0+3], v[vgprValuA_X2_I0_D3+0], v[vgprValuA_X2_I0_D2+0], s[sgprPackKForV1] // select K=23 for vector=1
v_mfma_f32_16x16x16_f16 a[0+0:3+0], v[vgprValuB_X2_I0+0+0+0:vgprValuB_X2_I0+0+0+0+1], v[vgprValuA_X2_I0+0+0+0:vgprValuA_X2_I0+0+0+0+1], a[0:3]
/*  mfmaIndex:129  */
/* pack scheduling: packAIdx:4, packBIdx:2 */
v_perm_b32 v[vgprValuA_X2_I0+4], v[vgprValuA_X2_I0_D1+1], v[vgprValuA_X2_I0_D0+1], s[sgprPackKForV0] // select K=01 for vector=0
v_perm_b32 v[vgprValuA_X2_I0+5], v[vgprValuA_X2_I0_D3+1], v[vgprValuA_X2_I0_D2+1], s[sgprPackKForV0] // select K=23 for vector=0
v_mfma_f32_16x16x16_f16 a[4+0:7+0], v[vgprValuB_X2_I0+0+0+0:vgprValuB_X2_I0+0+0+0+1], v[vgprValuA_X2_I0+2+0+0:vgprValuA_X2_I0+2+0+0+1], a[4:7]
/*  mfmaIndex:130  */
/* pack scheduling: packAIdx:6, packBIdx:2 */
v_perm_b32 v[vgprValuA_X2_I0+6], v[vgprValuA_X2_I0_D1+1], v[vgprValuA_X2_I0_D0+1], s[sgprPackKForV1] // select K=01 for vector=1
v_perm_b32 v[vgprValuA_X2_I0+7], v[vgprValuA_X2_I0_D3+1], v[vgprValuA_X2_I0_D2+1], s[sgprPackKForV1] // select K=23 for vector=1
v_mfma_f32_16x16x16_f16 a[8+0:11+0], v[vgprValuB_X2_I0+0+0+0:vgprValuB_X2_I0+0+0+0+1], v[vgprValuA_X2_I0+4+0+0:vgprValuA_X2_I0+4+0+0+1], a[8:11]
/*  mfmaIndex:131  */
/* pack scheduling: packAIdx:8, packBIdx:2 */
v_perm_b32 v[vgprValuA_X2_I0+8], v[vgprValuA_X2_I0_D1+2], v[vgprValuA_X2_I0_D0+2], s[sgprPackKForV0] // select K=01 for vector=0
v_perm_b32 v[vgprValuA_X2_I0+9], v[vgprValuA_X2_I0_D3+2], v[vgprValuA_X2_I0_D2+2], s[sgprPackKForV0] // select K=23 for vector=0
v_mfma_f32_16x16x16_f16 a[12+0:15+0], v[vgprValuB_X2_I0+0+0+0:vgprValuB_X2_I0+0+0+0+1], v[vgprValuA_X2_I0+6+0+0:vgprValuA_X2_I0+6+0+0+1], a[12:15]
/*  mfmaIndex:132  */
/* pack scheduling: packAIdx:10, packBIdx:2 */
	;; [unrolled: 10-line block ×3, first 2 shown]
v_perm_b32 v[vgprValuA_X2_I0+14], v[vgprValuA_X2_I0_D1+3], v[vgprValuA_X2_I0_D0+3], s[sgprPackKForV1] // select K=01 for vector=1
v_perm_b32 v[vgprValuA_X2_I0+15], v[vgprValuA_X2_I0_D3+3], v[vgprValuA_X2_I0_D2+3], s[sgprPackKForV1] // select K=23 for vector=1
v_mfma_f32_16x16x16_f16 a[24+0:27+0], v[vgprValuB_X2_I0+0+0+0:vgprValuB_X2_I0+0+0+0+1], v[vgprValuA_X2_I0+12+0+0:vgprValuA_X2_I0+12+0+0+1], a[24:27]
/*  mfmaIndex:135  */
/* pack scheduling: packAIdx:16, packBIdx:2 */
v_perm_b32 v[vgprValuB_X2_I0+2], v[vgprValuB_X2_I0_D1+0], v[vgprValuB_X2_I0_D0+0], s[sgprPackKForV1] // select K=01 for vector=1
v_perm_b32 v[vgprValuB_X2_I0+3], v[vgprValuB_X2_I0_D3+0], v[vgprValuB_X2_I0_D2+0], s[sgprPackKForV1] // select K=23 for vector=1
v_mfma_f32_16x16x16_f16 a[28+0:31+0], v[vgprValuB_X2_I0+0+0+0:vgprValuB_X2_I0+0+0+0+1], v[vgprValuA_X2_I0+14+0+0:vgprValuA_X2_I0+14+0+0+1], a[28:31]
/*  mfmaIndex:136  */
/* pack scheduling: packAIdx:16, packBIdx:4 */
v_perm_b32 v[vgprValuB_X2_I0+4], v[vgprValuB_X2_I0_D1+1], v[vgprValuB_X2_I0_D0+1], s[sgprPackKForV0] // select K=01 for vector=0
v_perm_b32 v[vgprValuB_X2_I0+5], v[vgprValuB_X2_I0_D3+1], v[vgprValuB_X2_I0_D2+1], s[sgprPackKForV0] // select K=23 for vector=0
v_mfma_f32_16x16x16_f16 a[60+0:63+0], v[vgprValuB_X2_I0+2+0+0:vgprValuB_X2_I0+2+0+0+1], v[vgprValuA_X2_I0+14+0+0:vgprValuA_X2_I0+14+0+0+1], a[60:63]
/*  mfmaIndex:137  */
/* pack scheduling: packAIdx:16, packBIdx:4 */
v_perm_b32 v[vgprValuB_X2_I0+6], v[vgprValuB_X2_I0_D1+1], v[vgprValuB_X2_I0_D0+1], s[sgprPackKForV1] // select K=01 for vector=1
v_perm_b32 v[vgprValuB_X2_I0+7], v[vgprValuB_X2_I0_D3+1], v[vgprValuB_X2_I0_D2+1], s[sgprPackKForV1] // select K=23 for vector=1
v_mfma_f32_16x16x16_f16 a[56+0:59+0], v[vgprValuB_X2_I0+2+0+0:vgprValuB_X2_I0+2+0+0+1], v[vgprValuA_X2_I0+12+0+0:vgprValuA_X2_I0+12+0+0+1], a[56:59]
/*  mfmaIndex:138  */
/* sched write - iter 2 writesPerItem=1 */
s_waitcnt vmcnt(0)                                 // lgkmcnt=-1 vmcnt=0wait for global read before writing to local
_ds_store_b128 v[vgprLocalWriteAddrA], v[vgprG2LA+28:vgprG2LA+28+3] offset:7168 // lwoA_0_0_7_0 = (0*LSCA) + (7*LSPA)(*MT0I+PAD) = 7168
/* pack scheduling: packAIdx:16, packBIdx:4 */
v_perm_b32 v[vgprValuB_X2_I0+8], v[vgprValuB_X2_I0_D1+2], v[vgprValuB_X2_I0_D0+2], s[sgprPackKForV0] // select K=01 for vector=0
v_perm_b32 v[vgprValuB_X2_I0+9], v[vgprValuB_X2_I0_D3+2], v[vgprValuB_X2_I0_D2+2], s[sgprPackKForV0] // select K=23 for vector=0
v_mfma_f32_16x16x16_f16 a[52+0:55+0], v[vgprValuB_X2_I0+2+0+0:vgprValuB_X2_I0+2+0+0+1], v[vgprValuA_X2_I0+10+0+0:vgprValuA_X2_I0+10+0+0+1], a[52:55]
/*  mfmaIndex:139  */
_buffer_load_b128 v[vgprG2LA+28:vgprG2LA+28+3], v[vgprGlobalReadOffsetA+0], s[sgprSrdA:sgprSrdA+3], s[sgprScalarGlobalReadOffsetA+6], offen offset:0 // G -> Reg 0_0_7_0
/* pack scheduling: packAIdx:16, packBIdx:4 */
v_perm_b32 v[vgprValuB_X2_I0+10], v[vgprValuB_X2_I0_D1+2], v[vgprValuB_X2_I0_D0+2], s[sgprPackKForV1] // select K=01 for vector=1
v_perm_b32 v[vgprValuB_X2_I0+11], v[vgprValuB_X2_I0_D3+2], v[vgprValuB_X2_I0_D2+2], s[sgprPackKForV1] // select K=23 for vector=1
v_mfma_f32_16x16x16_f16 a[48+0:51+0], v[vgprValuB_X2_I0+2+0+0:vgprValuB_X2_I0+2+0+0+1], v[vgprValuA_X2_I0+8+0+0:vgprValuA_X2_I0+8+0+0+1], a[48:51]
/*  mfmaIndex:140  */
/* pack scheduling: packAIdx:16, packBIdx:4 */
v_perm_b32 v[vgprValuB_X2_I0+12], v[vgprValuB_X2_I0_D1+3], v[vgprValuB_X2_I0_D0+3], s[sgprPackKForV0] // select K=01 for vector=0
v_perm_b32 v[vgprValuB_X2_I0+13], v[vgprValuB_X2_I0_D3+3], v[vgprValuB_X2_I0_D2+3], s[sgprPackKForV0] // select K=23 for vector=0
v_mfma_f32_16x16x16_f16 a[44+0:47+0], v[vgprValuB_X2_I0+2+0+0:vgprValuB_X2_I0+2+0+0+1], v[vgprValuA_X2_I0+6+0+0:vgprValuA_X2_I0+6+0+0+1], a[44:47]
/*  mfmaIndex:141  */
/* pack scheduling: packAIdx:16, packBIdx:4 */
v_perm_b32 v[vgprValuB_X2_I0+14], v[vgprValuB_X2_I0_D1+3], v[vgprValuB_X2_I0_D0+3], s[sgprPackKForV1] // select K=01 for vector=1
v_perm_b32 v[vgprValuB_X2_I0+15], v[vgprValuB_X2_I0_D3+3], v[vgprValuB_X2_I0_D2+3], s[sgprPackKForV1] // select K=23 for vector=1
v_mfma_f32_16x16x16_f16 a[40+0:43+0], v[vgprValuB_X2_I0+2+0+0:vgprValuB_X2_I0+2+0+0+1], v[vgprValuA_X2_I0+4+0+0:vgprValuA_X2_I0+4+0+0+1], a[40:43]
/*  mfmaIndex:142  */
v_mfma_f32_16x16x16_f16 a[36+0:39+0], v[vgprValuB_X2_I0+2+0+0:vgprValuB_X2_I0+2+0+0+1], v[vgprValuA_X2_I0+2+0+0:vgprValuA_X2_I0+2+0+0+1], a[36:39]
/*  mfmaIndex:143  */
	;; [unrolled: 2-line block ×8, first 2 shown]
/* sched write - iter 2 writesPerItem=1 */
s_waitcnt vmcnt(0)                                 // lgkmcnt=-1 vmcnt=0wait for global read before writing to local
_ds_store_b128 v[vgprLocalWriteAddrB], v[vgprG2LB+0:vgprG2LB+0+3] offset:0 // lwoB_0_0_0_0 = (0*LSCB) + (0*LSPB)(*MT1J+PAD) = 0
v_mfma_f32_16x16x16_f16 a[84+0:87+0], v[vgprValuB_X2_I0+4+0+0:vgprValuB_X2_I0+4+0+0+1], v[vgprValuA_X2_I0+10+0+0:vgprValuA_X2_I0+10+0+0+1], a[84:87]
/*  mfmaIndex:150  */
_buffer_load_b128 v[vgprG2LB+0:vgprG2LB+0+3], v[vgprGlobalReadOffsetB+0], s[sgprSrdB:sgprSrdB+3], 0, offen offset:0 // G -> Reg 0_0_0_0
v_mfma_f32_16x16x16_f16 a[88+0:91+0], v[vgprValuB_X2_I0+4+0+0:vgprValuB_X2_I0+4+0+0+1], v[vgprValuA_X2_I0+12+0+0:vgprValuA_X2_I0+12+0+0+1], a[88:91]
/*  mfmaIndex:151  */
v_mfma_f32_16x16x16_f16 a[92+0:95+0], v[vgprValuB_X2_I0+4+0+0:vgprValuB_X2_I0+4+0+0+1], v[vgprValuA_X2_I0+14+0+0:vgprValuA_X2_I0+14+0+0+1], a[92:95]
/*  mfmaIndex:152  */
	;; [unrolled: 2-line block ×11, first 2 shown]
/* sched write - iter 2 writesPerItem=1 */
s_waitcnt vmcnt(0)                                 // lgkmcnt=-1 vmcnt=0wait for global read before writing to local
_ds_store_b128 v[vgprLocalWriteAddrB], v[vgprG2LB+4:vgprG2LB+4+3] offset:1024 // lwoB_0_0_1_0 = (0*LSCB) + (1*LSPB)(*MT1J+PAD) = 1024
v_mfma_f32_16x16x16_f16 a[132+0:135+0], v[vgprValuB_X2_I0+8+0+0:vgprValuB_X2_I0+8+0+0+1], v[vgprValuA_X2_I0+2+0+0:vgprValuA_X2_I0+2+0+0+1], a[132:135]
/*  mfmaIndex:162  */
_buffer_load_b128 v[vgprG2LB+4:vgprG2LB+4+3], v[vgprGlobalReadOffsetB+0], s[sgprSrdB:sgprSrdB+3], s[sgprScalarGlobalReadOffsetB+0], offen offset:0 // G -> Reg 0_0_1_0
v_mfma_f32_16x16x16_f16 a[136+0:139+0], v[vgprValuB_X2_I0+8+0+0:vgprValuB_X2_I0+8+0+0+1], v[vgprValuA_X2_I0+4+0+0:vgprValuA_X2_I0+4+0+0+1], a[136:139]
/*  mfmaIndex:163  */
v_mfma_f32_16x16x16_f16 a[140+0:143+0], v[vgprValuB_X2_I0+8+0+0:vgprValuB_X2_I0+8+0+0+1], v[vgprValuA_X2_I0+6+0+0:vgprValuA_X2_I0+6+0+0+1], a[140:143]
/*  mfmaIndex:164  */
	;; [unrolled: 2-line block ×10, first 2 shown]
/* sched write - iter 2 writesPerItem=1 */
s_waitcnt vmcnt(0)                                 // lgkmcnt=-1 vmcnt=0wait for global read before writing to local
_ds_store_b128 v[vgprLocalWriteAddrB], v[vgprG2LB+8:vgprG2LB+8+3] offset:2048 // lwoB_0_0_2_0 = (0*LSCB) + (2*LSPB)(*MT1J+PAD) = 2048
v_mfma_f32_16x16x16_f16 a[172+0:175+0], v[vgprValuB_X2_I0+10+0+0:vgprValuB_X2_I0+10+0+0+1], v[vgprValuA_X2_I0+6+0+0:vgprValuA_X2_I0+6+0+0+1], a[172:175]
/*  mfmaIndex:173  */
_buffer_load_b128 v[vgprG2LB+8:vgprG2LB+8+3], v[vgprGlobalReadOffsetB+0], s[sgprSrdB:sgprSrdB+3], s[sgprScalarGlobalReadOffsetB+1], offen offset:0 // G -> Reg 0_0_2_0
v_mfma_f32_16x16x16_f16 a[168+0:171+0], v[vgprValuB_X2_I0+10+0+0:vgprValuB_X2_I0+10+0+0+1], v[vgprValuA_X2_I0+4+0+0:vgprValuA_X2_I0+4+0+0+1], a[168:171]
/*  mfmaIndex:174  */
v_mfma_f32_16x16x16_f16 a[164+0:167+0], v[vgprValuB_X2_I0+10+0+0:vgprValuB_X2_I0+10+0+0+1], v[vgprValuA_X2_I0+2+0+0:vgprValuA_X2_I0+2+0+0+1], a[164:167]
/*  mfmaIndex:175  */
	;; [unrolled: 2-line block ×10, first 2 shown]
/* sched write - iter 2 writesPerItem=1 */
s_waitcnt vmcnt(0)                                 // lgkmcnt=-1 vmcnt=0wait for global read before writing to local
_ds_store_b128 v[vgprLocalWriteAddrB], v[vgprG2LB+12:vgprG2LB+12+3] offset:3072 // lwoB_0_0_3_0 = (0*LSCB) + (3*LSPB)(*MT1J+PAD) = 3072
v_mfma_f32_16x16x16_f16 a[220+0:223+0], v[vgprValuB_X2_I0+12+0+0:vgprValuB_X2_I0+12+0+0+1], v[vgprValuA_X2_I0+14+0+0:vgprValuA_X2_I0+14+0+0+1], a[220:223]
/*  mfmaIndex:184  */
_buffer_load_b128 v[vgprG2LB+12:vgprG2LB+12+3], v[vgprGlobalReadOffsetB+0], s[sgprSrdB:sgprSrdB+3], s[sgprScalarGlobalReadOffsetB+2], offen offset:0 // G -> Reg 0_0_3_0
v_mfma_f32_16x16x16_f16 a[252+0:255+0], v[vgprValuB_X2_I0+14+0+0:vgprValuB_X2_I0+14+0+0+1], v[vgprValuA_X2_I0+14+0+0:vgprValuA_X2_I0+14+0+0+1], a[252:255]
/*  mfmaIndex:185  */
v_mfma_f32_16x16x16_f16 a[248+0:251+0], v[vgprValuB_X2_I0+14+0+0:vgprValuB_X2_I0+14+0+0+1], v[vgprValuA_X2_I0+12+0+0:vgprValuA_X2_I0+12+0+0+1], a[248:251]
/*  mfmaIndex:186  */
	;; [unrolled: 2-line block ×7, first 2 shown]

/* local read swap offsets a */

/* local read swap offsets b */

/* local read init pointers a */

/* localReadInitPointers */

/* local read init pointers b */

/* localReadInitPointers */
v_mfma_f32_16x16x16_f16 a[224+0:227+0], v[vgprValuB_X2_I0+14+0+0:vgprValuB_X2_I0+14+0+0+1], v[vgprValuA_X2_I0+0+0+0:vgprValuA_X2_I0+0+0+0+1], a[224:227]


/* iter 3 (swap and reset local write pointers iteration)  */

/*  grEndMfmaIndex:12, lwStartMfmaIndex:61, lwEndMfmaIndex:228  */
/*  numMfmaForLR:22, barrierMfmaIndex:233, LocalWritePerMfma:0.090 */
/*  mfmaIndex:192  */
/* pack scheduling: packAIdx:2, packBIdx:2 */
v_perm_b32 v[vgprValuA_X3_I0+0], v[vgprValuA_X3_I0_D1+0], v[vgprValuA_X3_I0_D0+0], s[sgprPackKForV0] // select K=01 for vector=0
v_perm_b32 v[vgprValuA_X3_I0+1], v[vgprValuA_X3_I0_D3+0], v[vgprValuA_X3_I0_D2+0], s[sgprPackKForV0] // select K=23 for vector=0
v_perm_b32 v[vgprValuB_X3_I0+0], v[vgprValuB_X3_I0_D1+0], v[vgprValuB_X3_I0_D0+0], s[sgprPackKForV0] // select K=01 for vector=0
v_perm_b32 v[vgprValuB_X3_I0+1], v[vgprValuB_X3_I0_D3+0], v[vgprValuB_X3_I0_D2+0], s[sgprPackKForV0] // select K=23 for vector=0
v_perm_b32 v[vgprValuA_X3_I0+2], v[vgprValuA_X3_I0_D1+0], v[vgprValuA_X3_I0_D0+0], s[sgprPackKForV1] // select K=01 for vector=1
v_perm_b32 v[vgprValuA_X3_I0+3], v[vgprValuA_X3_I0_D3+0], v[vgprValuA_X3_I0_D2+0], s[sgprPackKForV1] // select K=23 for vector=1
v_mfma_f32_16x16x16_f16 a[0+0:3+0], v[vgprValuB_X3_I0+0+0+0:vgprValuB_X3_I0+0+0+0+1], v[vgprValuA_X3_I0+0+0+0:vgprValuA_X3_I0+0+0+0+1], a[0:3]
/*  mfmaIndex:193  */
/* pack scheduling: packAIdx:4, packBIdx:2 */
v_perm_b32 v[vgprValuA_X3_I0+4], v[vgprValuA_X3_I0_D1+1], v[vgprValuA_X3_I0_D0+1], s[sgprPackKForV0] // select K=01 for vector=0
v_perm_b32 v[vgprValuA_X3_I0+5], v[vgprValuA_X3_I0_D3+1], v[vgprValuA_X3_I0_D2+1], s[sgprPackKForV0] // select K=23 for vector=0
v_mfma_f32_16x16x16_f16 a[4+0:7+0], v[vgprValuB_X3_I0+0+0+0:vgprValuB_X3_I0+0+0+0+1], v[vgprValuA_X3_I0+2+0+0:vgprValuA_X3_I0+2+0+0+1], a[4:7]
/*  mfmaIndex:194  */
/* sched write - iter 3 writesPerItem=1 */
s_waitcnt vmcnt(0)                                 // lgkmcnt=-1 vmcnt=0wait for global read before writing to local
_ds_store_b128 v[vgprLocalWriteAddrB], v[vgprG2LB+16:vgprG2LB+16+3] offset:4096 // lwoB_0_0_4_0 = (0*LSCB) + (4*LSPB)(*MT1J+PAD) = 4096
/* pack scheduling: packAIdx:6, packBIdx:2 */
v_perm_b32 v[vgprValuA_X3_I0+6], v[vgprValuA_X3_I0_D1+1], v[vgprValuA_X3_I0_D0+1], s[sgprPackKForV1] // select K=01 for vector=1
v_perm_b32 v[vgprValuA_X3_I0+7], v[vgprValuA_X3_I0_D3+1], v[vgprValuA_X3_I0_D2+1], s[sgprPackKForV1] // select K=23 for vector=1
v_mfma_f32_16x16x16_f16 a[8+0:11+0], v[vgprValuB_X3_I0+0+0+0:vgprValuB_X3_I0+0+0+0+1], v[vgprValuA_X3_I0+4+0+0:vgprValuA_X3_I0+4+0+0+1], a[8:11]
/*  mfmaIndex:195  */
_buffer_load_b128 v[vgprG2LB+16:vgprG2LB+16+3], v[vgprGlobalReadOffsetB+0], s[sgprSrdB:sgprSrdB+3], s[sgprScalarGlobalReadOffsetB+3], offen offset:0 // G -> Reg 0_0_4_0
/* pack scheduling: packAIdx:8, packBIdx:2 */
v_perm_b32 v[vgprValuA_X3_I0+8], v[vgprValuA_X3_I0_D1+2], v[vgprValuA_X3_I0_D0+2], s[sgprPackKForV0] // select K=01 for vector=0
v_perm_b32 v[vgprValuA_X3_I0+9], v[vgprValuA_X3_I0_D3+2], v[vgprValuA_X3_I0_D2+2], s[sgprPackKForV0] // select K=23 for vector=0
v_mfma_f32_16x16x16_f16 a[12+0:15+0], v[vgprValuB_X3_I0+0+0+0:vgprValuB_X3_I0+0+0+0+1], v[vgprValuA_X3_I0+6+0+0:vgprValuA_X3_I0+6+0+0+1], a[12:15]
/*  mfmaIndex:196  */
/* pack scheduling: packAIdx:10, packBIdx:2 */
v_perm_b32 v[vgprValuA_X3_I0+10], v[vgprValuA_X3_I0_D1+2], v[vgprValuA_X3_I0_D0+2], s[sgprPackKForV1] // select K=01 for vector=1
v_perm_b32 v[vgprValuA_X3_I0+11], v[vgprValuA_X3_I0_D3+2], v[vgprValuA_X3_I0_D2+2], s[sgprPackKForV1] // select K=23 for vector=1
v_mfma_f32_16x16x16_f16 a[16+0:19+0], v[vgprValuB_X3_I0+0+0+0:vgprValuB_X3_I0+0+0+0+1], v[vgprValuA_X3_I0+8+0+0:vgprValuA_X3_I0+8+0+0+1], a[16:19]
/*  mfmaIndex:197  */
/* pack scheduling: packAIdx:12, packBIdx:2 */
v_perm_b32 v[vgprValuA_X3_I0+12], v[vgprValuA_X3_I0_D1+3], v[vgprValuA_X3_I0_D0+3], s[sgprPackKForV0] // select K=01 for vector=0
v_perm_b32 v[vgprValuA_X3_I0+13], v[vgprValuA_X3_I0_D3+3], v[vgprValuA_X3_I0_D2+3], s[sgprPackKForV0] // select K=23 for vector=0
v_mfma_f32_16x16x16_f16 a[20+0:23+0], v[vgprValuB_X3_I0+0+0+0:vgprValuB_X3_I0+0+0+0+1], v[vgprValuA_X3_I0+10+0+0:vgprValuA_X3_I0+10+0+0+1], a[20:23]
/*  mfmaIndex:198  */
/* pack scheduling: packAIdx:14, packBIdx:2 */
v_perm_b32 v[vgprValuA_X3_I0+14], v[vgprValuA_X3_I0_D1+3], v[vgprValuA_X3_I0_D0+3], s[sgprPackKForV1] // select K=01 for vector=1
v_perm_b32 v[vgprValuA_X3_I0+15], v[vgprValuA_X3_I0_D3+3], v[vgprValuA_X3_I0_D2+3], s[sgprPackKForV1] // select K=23 for vector=1
v_mfma_f32_16x16x16_f16 a[24+0:27+0], v[vgprValuB_X3_I0+0+0+0:vgprValuB_X3_I0+0+0+0+1], v[vgprValuA_X3_I0+12+0+0:vgprValuA_X3_I0+12+0+0+1], a[24:27]
/*  mfmaIndex:199  */
/* pack scheduling: packAIdx:16, packBIdx:2 */
v_perm_b32 v[vgprValuB_X3_I0+2], v[vgprValuB_X3_I0_D1+0], v[vgprValuB_X3_I0_D0+0], s[sgprPackKForV1] // select K=01 for vector=1
v_perm_b32 v[vgprValuB_X3_I0+3], v[vgprValuB_X3_I0_D3+0], v[vgprValuB_X3_I0_D2+0], s[sgprPackKForV1] // select K=23 for vector=1
v_mfma_f32_16x16x16_f16 a[28+0:31+0], v[vgprValuB_X3_I0+0+0+0:vgprValuB_X3_I0+0+0+0+1], v[vgprValuA_X3_I0+14+0+0:vgprValuA_X3_I0+14+0+0+1], a[28:31]
/*  mfmaIndex:200  */
/* pack scheduling: packAIdx:16, packBIdx:4 */
v_perm_b32 v[vgprValuB_X3_I0+4], v[vgprValuB_X3_I0_D1+1], v[vgprValuB_X3_I0_D0+1], s[sgprPackKForV0] // select K=01 for vector=0
v_perm_b32 v[vgprValuB_X3_I0+5], v[vgprValuB_X3_I0_D3+1], v[vgprValuB_X3_I0_D2+1], s[sgprPackKForV0] // select K=23 for vector=0
v_mfma_f32_16x16x16_f16 a[60+0:63+0], v[vgprValuB_X3_I0+2+0+0:vgprValuB_X3_I0+2+0+0+1], v[vgprValuA_X3_I0+14+0+0:vgprValuA_X3_I0+14+0+0+1], a[60:63]
/*  mfmaIndex:201  */
/* pack scheduling: packAIdx:16, packBIdx:4 */
v_perm_b32 v[vgprValuB_X3_I0+6], v[vgprValuB_X3_I0_D1+1], v[vgprValuB_X3_I0_D0+1], s[sgprPackKForV1] // select K=01 for vector=1
v_perm_b32 v[vgprValuB_X3_I0+7], v[vgprValuB_X3_I0_D3+1], v[vgprValuB_X3_I0_D2+1], s[sgprPackKForV1] // select K=23 for vector=1
v_mfma_f32_16x16x16_f16 a[56+0:59+0], v[vgprValuB_X3_I0+2+0+0:vgprValuB_X3_I0+2+0+0+1], v[vgprValuA_X3_I0+12+0+0:vgprValuA_X3_I0+12+0+0+1], a[56:59]
/*  mfmaIndex:202  */
/* pack scheduling: packAIdx:16, packBIdx:4 */
v_perm_b32 v[vgprValuB_X3_I0+8], v[vgprValuB_X3_I0_D1+2], v[vgprValuB_X3_I0_D0+2], s[sgprPackKForV0] // select K=01 for vector=0
v_perm_b32 v[vgprValuB_X3_I0+9], v[vgprValuB_X3_I0_D3+2], v[vgprValuB_X3_I0_D2+2], s[sgprPackKForV0] // select K=23 for vector=0
	;; [unrolled: 10-line block ×3, first 2 shown]
v_mfma_f32_16x16x16_f16 a[44+0:47+0], v[vgprValuB_X3_I0+2+0+0:vgprValuB_X3_I0+2+0+0+1], v[vgprValuA_X3_I0+6+0+0:vgprValuA_X3_I0+6+0+0+1], a[44:47]
/*  mfmaIndex:205  */
/* sched write - iter 3 writesPerItem=1 */
s_waitcnt vmcnt(0)                                 // lgkmcnt=-1 vmcnt=0wait for global read before writing to local
_ds_store_b128 v[vgprLocalWriteAddrB], v[vgprG2LB+20:vgprG2LB+20+3] offset:5120 // lwoB_0_0_5_0 = (0*LSCB) + (5*LSPB)(*MT1J+PAD) = 5120
/* pack scheduling: packAIdx:16, packBIdx:4 */
v_perm_b32 v[vgprValuB_X3_I0+14], v[vgprValuB_X3_I0_D1+3], v[vgprValuB_X3_I0_D0+3], s[sgprPackKForV1] // select K=01 for vector=1
v_perm_b32 v[vgprValuB_X3_I0+15], v[vgprValuB_X3_I0_D3+3], v[vgprValuB_X3_I0_D2+3], s[sgprPackKForV1] // select K=23 for vector=1
v_mfma_f32_16x16x16_f16 a[40+0:43+0], v[vgprValuB_X3_I0+2+0+0:vgprValuB_X3_I0+2+0+0+1], v[vgprValuA_X3_I0+4+0+0:vgprValuA_X3_I0+4+0+0+1], a[40:43]
/*  mfmaIndex:206  */
_buffer_load_b128 v[vgprG2LB+20:vgprG2LB+20+3], v[vgprGlobalReadOffsetB+0], s[sgprSrdB:sgprSrdB+3], s[sgprScalarGlobalReadOffsetB+4], offen offset:0 // G -> Reg 0_0_5_0
v_mfma_f32_16x16x16_f16 a[36+0:39+0], v[vgprValuB_X3_I0+2+0+0:vgprValuB_X3_I0+2+0+0+1], v[vgprValuA_X3_I0+2+0+0:vgprValuA_X3_I0+2+0+0+1], a[36:39]
/*  mfmaIndex:207  */
v_mfma_f32_16x16x16_f16 a[32+0:35+0], v[vgprValuB_X3_I0+2+0+0:vgprValuB_X3_I0+2+0+0+1], v[vgprValuA_X3_I0+0+0+0:vgprValuA_X3_I0+0+0+0+1], a[32:35]
/*  mfmaIndex:208  */
	;; [unrolled: 2-line block ×10, first 2 shown]
/* sched write - iter 3 writesPerItem=1 */
s_waitcnt vmcnt(0)                                 // lgkmcnt=-1 vmcnt=0wait for global read before writing to local
_ds_store_b128 v[vgprLocalWriteAddrB], v[vgprG2LB+24:vgprG2LB+24+3] offset:6144 // lwoB_0_0_6_0 = (0*LSCB) + (6*LSPB)(*MT1J+PAD) = 6144
v_mfma_f32_16x16x16_f16 a[124+0:127+0], v[vgprValuB_X3_I0+6+0+0:vgprValuB_X3_I0+6+0+0+1], v[vgprValuA_X3_I0+14+0+0:vgprValuA_X3_I0+14+0+0+1], a[124:127]
/*  mfmaIndex:217  */
_buffer_load_b128 v[vgprG2LB+24:vgprG2LB+24+3], v[vgprGlobalReadOffsetB+0], s[sgprSrdB:sgprSrdB+3], s[sgprScalarGlobalReadOffsetB+5], offen offset:0 // G -> Reg 0_0_6_0
v_mfma_f32_16x16x16_f16 a[120+0:123+0], v[vgprValuB_X3_I0+6+0+0:vgprValuB_X3_I0+6+0+0+1], v[vgprValuA_X3_I0+12+0+0:vgprValuA_X3_I0+12+0+0+1], a[120:123]
/*  mfmaIndex:218  */
v_mfma_f32_16x16x16_f16 a[116+0:119+0], v[vgprValuB_X3_I0+6+0+0:vgprValuB_X3_I0+6+0+0+1], v[vgprValuA_X3_I0+10+0+0:vgprValuA_X3_I0+10+0+0+1], a[116:119]
/*  mfmaIndex:219  */
v_mfma_f32_16x16x16_f16 a[112+0:115+0], v[vgprValuB_X3_I0+6+0+0:vgprValuB_X3_I0+6+0+0+1], v[vgprValuA_X3_I0+8+0+0:vgprValuA_X3_I0+8+0+0+1], a[112:115]
/*  mfmaIndex:220  */
v_mfma_f32_16x16x16_f16 a[108+0:111+0], v[vgprValuB_X3_I0+6+0+0:vgprValuB_X3_I0+6+0+0+1], v[vgprValuA_X3_I0+6+0+0:vgprValuA_X3_I0+6+0+0+1], a[108:111]
/*  mfmaIndex:221  */
v_mfma_f32_16x16x16_f16 a[104+0:107+0], v[vgprValuB_X3_I0+6+0+0:vgprValuB_X3_I0+6+0+0+1], v[vgprValuA_X3_I0+4+0+0:vgprValuA_X3_I0+4+0+0+1], a[104:107]
/*  mfmaIndex:222  */
v_mfma_f32_16x16x16_f16 a[100+0:103+0], v[vgprValuB_X3_I0+6+0+0:vgprValuB_X3_I0+6+0+0+1], v[vgprValuA_X3_I0+2+0+0:vgprValuA_X3_I0+2+0+0+1], a[100:103]
/*  mfmaIndex:223  */
v_mfma_f32_16x16x16_f16 a[96+0:99+0], v[vgprValuB_X3_I0+6+0+0:vgprValuB_X3_I0+6+0+0+1], v[vgprValuA_X3_I0+0+0+0:vgprValuA_X3_I0+0+0+0+1], a[96:99]
/*  mfmaIndex:224  */
v_mfma_f32_16x16x16_f16 a[128+0:131+0], v[vgprValuB_X3_I0+8+0+0:vgprValuB_X3_I0+8+0+0+1], v[vgprValuA_X3_I0+0+0+0:vgprValuA_X3_I0+0+0+0+1], a[128:131]
/*  mfmaIndex:225  */
v_mfma_f32_16x16x16_f16 a[132+0:135+0], v[vgprValuB_X3_I0+8+0+0:vgprValuB_X3_I0+8+0+0+1], v[vgprValuA_X3_I0+2+0+0:vgprValuA_X3_I0+2+0+0+1], a[132:135]
/*  mfmaIndex:226  */
v_mfma_f32_16x16x16_f16 a[136+0:139+0], v[vgprValuB_X3_I0+8+0+0:vgprValuB_X3_I0+8+0+0+1], v[vgprValuA_X3_I0+4+0+0:vgprValuA_X3_I0+4+0+0+1], a[136:139]
/*  mfmaIndex:227  */
/* sched write - iter 3 writesPerItem=1 */
s_waitcnt vmcnt(0)                                 // lgkmcnt=-1 vmcnt=0wait for global read before writing to local
_ds_store_b128 v[vgprLocalWriteAddrB], v[vgprG2LB+28:vgprG2LB+28+3] offset:7168 // lwoB_0_0_7_0 = (0*LSCB) + (7*LSPB)(*MT1J+PAD) = 7168
v_mfma_f32_16x16x16_f16 a[140+0:143+0], v[vgprValuB_X3_I0+8+0+0:vgprValuB_X3_I0+8+0+0+1], v[vgprValuA_X3_I0+6+0+0:vgprValuA_X3_I0+6+0+0+1], a[140:143]
/*  mfmaIndex:228  */
_buffer_load_b128 v[vgprG2LB+28:vgprG2LB+28+3], v[vgprGlobalReadOffsetB+0], s[sgprSrdB:sgprSrdB+3], s[sgprScalarGlobalReadOffsetB+6], offen offset:0 // G -> Reg 0_0_7_0

/* local write swap offsets a */

/* local write swap offsets b */
v_mfma_f32_16x16x16_f16 a[144+0:147+0], v[vgprValuB_X3_I0+8+0+0:vgprValuB_X3_I0+8+0+0+1], v[vgprValuA_X3_I0+8+0+0:vgprValuA_X3_I0+8+0+0+1], a[144:147]
/*  mfmaIndex:229  */
v_mfma_f32_16x16x16_f16 a[148+0:151+0], v[vgprValuB_X3_I0+8+0+0:vgprValuB_X3_I0+8+0+0+1], v[vgprValuA_X3_I0+10+0+0:vgprValuA_X3_I0+10+0+0+1], a[148:151]
/*  mfmaIndex:230  */
	;; [unrolled: 2-line block ×4, first 2 shown]
v_mfma_f32_16x16x16_f16 a[188+0:191+0], v[vgprValuB_X3_I0+10+0+0:vgprValuB_X3_I0+10+0+0+1], v[vgprValuA_X3_I0+14+0+0:vgprValuA_X3_I0+14+0+0+1], a[188:191]
s_setprio 0                                        // store optimization
/*  mfmaIndex:233  */
s_waitcnt lgkmcnt(0)                               // lgkmcnt=0 vmcnt=-13wait for local write
// Skip force waitcnt0
s_barrier //
v_mfma_f32_16x16x16_f16 a[184+0:187+0], v[vgprValuB_X3_I0+10+0+0:vgprValuB_X3_I0+10+0+0+1], v[vgprValuA_X3_I0+12+0+0:vgprValuA_X3_I0+12+0+0+1], a[184:187]
/*  mfmaIndex:234  */
s_setprio 3                                        // store optimization
_ds_load_b64 v[vgprValuA_X0_I0_D0+0:vgprValuA_X0_I0_D0+0+1], v[vgprLocalReadAddrA] offset:0 // L -> Reg lro=0 swapByteOffset=0 ti=128 vIdx=0 rIdx=0 oIdx=0 buffer=0 iui=0
v_mfma_f32_16x16x16_f16 a[180+0:183+0], v[vgprValuB_X3_I0+10+0+0:vgprValuB_X3_I0+10+0+0+1], v[vgprValuA_X3_I0+10+0+0:vgprValuA_X3_I0+10+0+0+1], a[180:183]
/*  mfmaIndex:235  */
_ds_load_b64 v[vgprValuA_X0_I0_D1+0:vgprValuA_X0_I0_D1+0+1], v[vgprLocalReadAddrA] offset:512 // L -> Reg lro=0 swapByteOffset=0 ti=128 vIdx=0 rIdx=1 oIdx=0 buffer=0 iui=0
v_mfma_f32_16x16x16_f16 a[176+0:179+0], v[vgprValuB_X3_I0+10+0+0:vgprValuB_X3_I0+10+0+0+1], v[vgprValuA_X3_I0+8+0+0:vgprValuA_X3_I0+8+0+0+1], a[176:179]
/*  mfmaIndex:236  */
_ds_load_b64 v[vgprValuA_X0_I0_D2+0:vgprValuA_X0_I0_D2+0+1], v[vgprLocalReadAddrA] offset:1024 // L -> Reg lro=0 swapByteOffset=0 ti=128 vIdx=0 rIdx=2 oIdx=0 buffer=0 iui=0
v_mfma_f32_16x16x16_f16 a[172+0:175+0], v[vgprValuB_X3_I0+10+0+0:vgprValuB_X3_I0+10+0+0+1], v[vgprValuA_X3_I0+6+0+0:vgprValuA_X3_I0+6+0+0+1], a[172:175]
/*  mfmaIndex:237  */
_ds_load_b64 v[vgprValuA_X0_I0_D3+0:vgprValuA_X0_I0_D3+0+1], v[vgprLocalReadAddrA] offset:1536 // L -> Reg lro=0 swapByteOffset=0 ti=128 vIdx=0 rIdx=3 oIdx=0 buffer=0 iui=0
v_mfma_f32_16x16x16_f16 a[168+0:171+0], v[vgprValuB_X3_I0+10+0+0:vgprValuB_X3_I0+10+0+0+1], v[vgprValuA_X3_I0+4+0+0:vgprValuA_X3_I0+4+0+0+1], a[168:171]
/*  mfmaIndex:238  */
_ds_load_b64 v[vgprValuB_X0_I0_D0+0:vgprValuB_X0_I0_D0+0+1], v[vgprLocalReadAddrB] offset:0 // L -> Reg lro=0 swapByteOffset=0 ti=128 vIdx=0 rIdx=0 oIdx=0 buffer=0 iui=0
v_mfma_f32_16x16x16_f16 a[164+0:167+0], v[vgprValuB_X3_I0+10+0+0:vgprValuB_X3_I0+10+0+0+1], v[vgprValuA_X3_I0+2+0+0:vgprValuA_X3_I0+2+0+0+1], a[164:167]
/*  mfmaIndex:239  */
_ds_load_b64 v[vgprValuB_X0_I0_D1+0:vgprValuB_X0_I0_D1+0+1], v[vgprLocalReadAddrB] offset:512 // L -> Reg lro=0 swapByteOffset=0 ti=128 vIdx=0 rIdx=1 oIdx=0 buffer=0 iui=0
v_mfma_f32_16x16x16_f16 a[160+0:163+0], v[vgprValuB_X3_I0+10+0+0:vgprValuB_X3_I0+10+0+0+1], v[vgprValuA_X3_I0+0+0+0:vgprValuA_X3_I0+0+0+0+1], a[160:163]
/*  mfmaIndex:240  */
_ds_load_b64 v[vgprValuB_X0_I0_D2+0:vgprValuB_X0_I0_D2+0+1], v[vgprLocalReadAddrB] offset:1024 // L -> Reg lro=0 swapByteOffset=0 ti=128 vIdx=0 rIdx=2 oIdx=0 buffer=0 iui=0
v_mfma_f32_16x16x16_f16 a[192+0:195+0], v[vgprValuB_X3_I0+12+0+0:vgprValuB_X3_I0+12+0+0+1], v[vgprValuA_X3_I0+0+0+0:vgprValuA_X3_I0+0+0+0+1], a[192:195]
/*  mfmaIndex:241  */
_ds_load_b64 v[vgprValuB_X0_I0_D3+0:vgprValuB_X0_I0_D3+0+1], v[vgprLocalReadAddrB] offset:1536 // L -> Reg lro=0 swapByteOffset=0 ti=128 vIdx=0 rIdx=3 oIdx=0 buffer=0 iui=0
v_mfma_f32_16x16x16_f16 a[196+0:199+0], v[vgprValuB_X3_I0+12+0+0:vgprValuB_X3_I0+12+0+0+1], v[vgprValuA_X3_I0+2+0+0:vgprValuA_X3_I0+2+0+0+1], a[196:199]
/*  mfmaIndex:242  */
_ds_load_b64 v[vgprValuA_X0_I0_D0+2:vgprValuA_X0_I0_D0+2+1], v[vgprLocalReadAddrA] offset:256 // L -> Reg lro=0 swapByteOffset=0 ti=128 vIdx=1 rIdx=0 oIdx=0 buffer=0 iui=0
v_mfma_f32_16x16x16_f16 a[200+0:203+0], v[vgprValuB_X3_I0+12+0+0:vgprValuB_X3_I0+12+0+0+1], v[vgprValuA_X3_I0+4+0+0:vgprValuA_X3_I0+4+0+0+1], a[200:203]
/*  mfmaIndex:243  */
_ds_load_b64 v[vgprValuA_X0_I0_D1+2:vgprValuA_X0_I0_D1+2+1], v[vgprLocalReadAddrA] offset:768 // L -> Reg lro=0 swapByteOffset=0 ti=128 vIdx=1 rIdx=1 oIdx=0 buffer=0 iui=0
v_mfma_f32_16x16x16_f16 a[204+0:207+0], v[vgprValuB_X3_I0+12+0+0:vgprValuB_X3_I0+12+0+0+1], v[vgprValuA_X3_I0+6+0+0:vgprValuA_X3_I0+6+0+0+1], a[204:207]
/*  mfmaIndex:244  */
_ds_load_b64 v[vgprValuA_X0_I0_D2+2:vgprValuA_X0_I0_D2+2+1], v[vgprLocalReadAddrA] offset:1280 // L -> Reg lro=0 swapByteOffset=0 ti=128 vIdx=1 rIdx=2 oIdx=0 buffer=0 iui=0
v_mfma_f32_16x16x16_f16 a[208+0:211+0], v[vgprValuB_X3_I0+12+0+0:vgprValuB_X3_I0+12+0+0+1], v[vgprValuA_X3_I0+8+0+0:vgprValuA_X3_I0+8+0+0+1], a[208:211]
/*  mfmaIndex:245  */
_ds_load_b64 v[vgprValuA_X0_I0_D3+2:vgprValuA_X0_I0_D3+2+1], v[vgprLocalReadAddrA] offset:1792 // L -> Reg lro=0 swapByteOffset=0 ti=128 vIdx=1 rIdx=3 oIdx=0 buffer=0 iui=0
v_mfma_f32_16x16x16_f16 a[212+0:215+0], v[vgprValuB_X3_I0+12+0+0:vgprValuB_X3_I0+12+0+0+1], v[vgprValuA_X3_I0+10+0+0:vgprValuA_X3_I0+10+0+0+1], a[212:215]
/*  mfmaIndex:246  */
_ds_load_b64 v[vgprValuB_X0_I0_D0+2:vgprValuB_X0_I0_D0+2+1], v[vgprLocalReadAddrB] offset:256 // L -> Reg lro=0 swapByteOffset=0 ti=128 vIdx=1 rIdx=0 oIdx=0 buffer=0 iui=0
v_mfma_f32_16x16x16_f16 a[216+0:219+0], v[vgprValuB_X3_I0+12+0+0:vgprValuB_X3_I0+12+0+0+1], v[vgprValuA_X3_I0+12+0+0:vgprValuA_X3_I0+12+0+0+1], a[216:219]
/*  mfmaIndex:247  */
_ds_load_b64 v[vgprValuB_X0_I0_D1+2:vgprValuB_X0_I0_D1+2+1], v[vgprLocalReadAddrB] offset:768 // L -> Reg lro=0 swapByteOffset=0 ti=128 vIdx=1 rIdx=1 oIdx=0 buffer=0 iui=0
v_mfma_f32_16x16x16_f16 a[220+0:223+0], v[vgprValuB_X3_I0+12+0+0:vgprValuB_X3_I0+12+0+0+1], v[vgprValuA_X3_I0+14+0+0:vgprValuA_X3_I0+14+0+0+1], a[220:223]
/*  mfmaIndex:248  */
_ds_load_b64 v[vgprValuB_X0_I0_D2+2:vgprValuB_X0_I0_D2+2+1], v[vgprLocalReadAddrB] offset:1280 // L -> Reg lro=0 swapByteOffset=0 ti=128 vIdx=1 rIdx=2 oIdx=0 buffer=0 iui=0
v_mfma_f32_16x16x16_f16 a[252+0:255+0], v[vgprValuB_X3_I0+14+0+0:vgprValuB_X3_I0+14+0+0+1], v[vgprValuA_X3_I0+14+0+0:vgprValuA_X3_I0+14+0+0+1], a[252:255]
/*  mfmaIndex:249  */
_ds_load_b64 v[vgprValuB_X0_I0_D3+2:vgprValuB_X0_I0_D3+2+1], v[vgprLocalReadAddrB] offset:1792 // L -> Reg lro=0 swapByteOffset=0 ti=128 vIdx=1 rIdx=3 oIdx=0 buffer=0 iui=0
v_mfma_f32_16x16x16_f16 a[248+0:251+0], v[vgprValuB_X3_I0+14+0+0:vgprValuB_X3_I0+14+0+0+1], v[vgprValuA_X3_I0+12+0+0:vgprValuA_X3_I0+12+0+0+1], a[248:251]
/*  mfmaIndex:250  */
v_mfma_f32_16x16x16_f16 a[244+0:247+0], v[vgprValuB_X3_I0+14+0+0:vgprValuB_X3_I0+14+0+0+1], v[vgprValuA_X3_I0+10+0+0:vgprValuA_X3_I0+10+0+0+1], a[244:247]
/*  mfmaIndex:251  */
v_mfma_f32_16x16x16_f16 a[240+0:243+0], v[vgprValuB_X3_I0+14+0+0:vgprValuB_X3_I0+14+0+0+1], v[vgprValuA_X3_I0+8+0+0:vgprValuA_X3_I0+8+0+0+1], a[240:243]
/*  mfmaIndex:252  */
v_mfma_f32_16x16x16_f16 a[236+0:239+0], v[vgprValuB_X3_I0+14+0+0:vgprValuB_X3_I0+14+0+0+1], v[vgprValuA_X3_I0+6+0+0:vgprValuA_X3_I0+6+0+0+1], a[236:239]
/*  mfmaIndex:253  */
v_mfma_f32_16x16x16_f16 a[232+0:235+0], v[vgprValuB_X3_I0+14+0+0:vgprValuB_X3_I0+14+0+0+1], v[vgprValuA_X3_I0+4+0+0:vgprValuA_X3_I0+4+0+0+1], a[232:235]
/*  mfmaIndex:254  */
v_mfma_f32_16x16x16_f16 a[228+0:231+0], v[vgprValuB_X3_I0+14+0+0:vgprValuB_X3_I0+14+0+0+1], v[vgprValuA_X3_I0+2+0+0:vgprValuA_X3_I0+2+0+0+1], a[228:231]
/*  mfmaIndex:255  */
v_mfma_f32_16x16x16_f16 a[224+0:227+0], v[vgprValuB_X3_I0+14+0+0:vgprValuB_X3_I0+14+0+0+1], v[vgprValuA_X3_I0+0+0+0:vgprValuA_X3_I0+0+0+0+1], a[224:227]
s_setprio 0                                        // store optimization


/******************************************/
/* Unrolled Loop - End 1/2                */
/******************************************/


/* closeLoop loopL finalLoop=0 tailLoop=0 */
s_sub_u32 s[sgprLoopCounterL], s[sgprLoopCounterL], 1 // dec counterL
s_cmp_eq_i32 s[sgprLoopCounterL], 0x2              // counterL==2
s_cbranch_scc1 LoopEndL_oddexit_3                  // exit LoopL


/******************************************/
/* Unrolled Loop 2/2 - Begin              */
/******************************************/

label_0016: // LoopCopy2 


/* Begin Each Unroll: Check VGPR.checkin for INT8 LW */


	;; [unrolled: 1-line block ×3, first 2 shown]
/* iter 0 */

/*  grEndMfmaIndex:12, lwStartMfmaIndex:61, lwEndMfmaIndex:228  */
/*  numMfmaForLR:22, barrierMfmaIndex:233, LocalWritePerMfma:0.090 */
/*  mfmaIndex:0  */
s_waitcnt lgkmcnt(0)                               // lgkmcnt=0 vmcnt=-1wait for prior local read local write old=0, new=0 newLW=0 newLR=0
/* pack scheduling: packAIdx:2, packBIdx:2 */
v_perm_b32 v[vgprValuA_X0_I0+0], v[vgprValuA_X0_I0_D1+0], v[vgprValuA_X0_I0_D0+0], s[sgprPackKForV0] // select K=01 for vector=0
v_perm_b32 v[vgprValuA_X0_I0+1], v[vgprValuA_X0_I0_D3+0], v[vgprValuA_X0_I0_D2+0], s[sgprPackKForV0] // select K=23 for vector=0
v_perm_b32 v[vgprValuB_X0_I0+0], v[vgprValuB_X0_I0_D1+0], v[vgprValuB_X0_I0_D0+0], s[sgprPackKForV0] // select K=01 for vector=0
v_perm_b32 v[vgprValuB_X0_I0+1], v[vgprValuB_X0_I0_D3+0], v[vgprValuB_X0_I0_D2+0], s[sgprPackKForV0] // select K=23 for vector=0
v_perm_b32 v[vgprValuA_X0_I0+2], v[vgprValuA_X0_I0_D1+0], v[vgprValuA_X0_I0_D0+0], s[sgprPackKForV1] // select K=01 for vector=1
v_perm_b32 v[vgprValuA_X0_I0+3], v[vgprValuA_X0_I0_D3+0], v[vgprValuA_X0_I0_D2+0], s[sgprPackKForV1] // select K=23 for vector=1
v_mfma_f32_16x16x16_f16 a[0+0:3+0], v[vgprValuB_X0_I0+0+0+0:vgprValuB_X0_I0+0+0+0+1], v[vgprValuA_X0_I0+0+0+0:vgprValuA_X0_I0+0+0+0+1], a[0:3]
/*  mfmaIndex:1  */
_ds_load_b64 v[vgprValuA_X1_I0_D0+0:vgprValuA_X1_I0_D0+0+1], v[vgprLocalReadAddrA] offset:8192 // L -> Reg lro=4096 swapByteOffset=0 ti=128 vIdx=0 rIdx=0 oIdx=0 buffer=1 iui=0

/* global read inc A loopL */
s_add_u32 s[sgprSrdA+0], s[sgprSrdA+0], s[sgprGlobalReadIncsA+0] // gra SRD += inc(lower)
/* pack scheduling: packAIdx:4, packBIdx:2 */
v_perm_b32 v[vgprValuA_X0_I0+4], v[vgprValuA_X0_I0_D1+1], v[vgprValuA_X0_I0_D0+1], s[sgprPackKForV0] // select K=01 for vector=0
v_perm_b32 v[vgprValuA_X0_I0+5], v[vgprValuA_X0_I0_D3+1], v[vgprValuA_X0_I0_D2+1], s[sgprPackKForV0] // select K=23 for vector=0
v_mfma_f32_16x16x16_f16 a[4+0:7+0], v[vgprValuB_X0_I0+0+0+0:vgprValuB_X0_I0+0+0+0+1], v[vgprValuA_X0_I0+2+0+0:vgprValuA_X0_I0+2+0+0+1], a[4:7]
/*  mfmaIndex:2  */
_ds_load_b64 v[vgprValuA_X1_I0_D1+0:vgprValuA_X1_I0_D1+0+1], v[vgprLocalReadAddrA] offset:8704 // L -> Reg lro=4096 swapByteOffset=0 ti=128 vIdx=0 rIdx=1 oIdx=0 buffer=1 iui=0
s_addc_u32  s[sgprSrdA+1], s[sgprSrdA+1], 0        // gra SRD += inc(upper)
/* pack scheduling: packAIdx:6, packBIdx:2 */
v_perm_b32 v[vgprValuA_X0_I0+6], v[vgprValuA_X0_I0_D1+1], v[vgprValuA_X0_I0_D0+1], s[sgprPackKForV1] // select K=01 for vector=1
v_perm_b32 v[vgprValuA_X0_I0+7], v[vgprValuA_X0_I0_D3+1], v[vgprValuA_X0_I0_D2+1], s[sgprPackKForV1] // select K=23 for vector=1
v_mfma_f32_16x16x16_f16 a[8+0:11+0], v[vgprValuB_X0_I0+0+0+0:vgprValuB_X0_I0+0+0+0+1], v[vgprValuA_X0_I0+4+0+0:vgprValuA_X0_I0+4+0+0+1], a[8:11]
/*  mfmaIndex:3  */
_ds_load_b64 v[vgprValuA_X1_I0_D2+0:vgprValuA_X1_I0_D2+0+1], v[vgprLocalReadAddrA] offset:9216 // L -> Reg lro=4096 swapByteOffset=0 ti=128 vIdx=0 rIdx=2 oIdx=0 buffer=1 iui=0
s_sub_u32 s[sgprShadowLimitA+0], s[sgprShadowLimitA+0], s[sgprGlobalReadIncsA+0] // limit -= inc)
/* pack scheduling: packAIdx:8, packBIdx:2 */
v_perm_b32 v[vgprValuA_X0_I0+8], v[vgprValuA_X0_I0_D1+2], v[vgprValuA_X0_I0_D0+2], s[sgprPackKForV0] // select K=01 for vector=0
v_perm_b32 v[vgprValuA_X0_I0+9], v[vgprValuA_X0_I0_D3+2], v[vgprValuA_X0_I0_D2+2], s[sgprPackKForV0] // select K=23 for vector=0
v_mfma_f32_16x16x16_f16 a[12+0:15+0], v[vgprValuB_X0_I0+0+0+0:vgprValuB_X0_I0+0+0+0+1], v[vgprValuA_X0_I0+6+0+0:vgprValuA_X0_I0+6+0+0+1], a[12:15]
/*  mfmaIndex:4  */
_ds_load_b64 v[vgprValuA_X1_I0_D3+0:vgprValuA_X1_I0_D3+0+1], v[vgprLocalReadAddrA] offset:9728 // L -> Reg lro=4096 swapByteOffset=0 ti=128 vIdx=0 rIdx=3 oIdx=0 buffer=1 iui=0
s_subb_u32 s[sgprShadowLimitA+1], s[sgprShadowLimitA+1], 0 // limit -= inc)
/* pack scheduling: packAIdx:10, packBIdx:2 */
v_perm_b32 v[vgprValuA_X0_I0+10], v[vgprValuA_X0_I0_D1+2], v[vgprValuA_X0_I0_D0+2], s[sgprPackKForV1] // select K=01 for vector=1
v_perm_b32 v[vgprValuA_X0_I0+11], v[vgprValuA_X0_I0_D3+2], v[vgprValuA_X0_I0_D2+2], s[sgprPackKForV1] // select K=23 for vector=1
v_mfma_f32_16x16x16_f16 a[16+0:19+0], v[vgprValuB_X0_I0+0+0+0:vgprValuB_X0_I0+0+0+0+1], v[vgprValuA_X0_I0+8+0+0:vgprValuA_X0_I0+8+0+0+1], a[16:19]
/*  mfmaIndex:5  */
_ds_load_b64 v[vgprValuB_X1_I0_D0+0:vgprValuB_X1_I0_D0+0+1], v[vgprLocalReadAddrB] offset:8192 // L -> Reg lro=4096 swapByteOffset=0 ti=128 vIdx=0 rIdx=0 oIdx=0 buffer=1 iui=0
s_cmp_eq_u32 s[sgprShadowLimitA+1], 0              // are we within 2^32?
/* pack scheduling: packAIdx:12, packBIdx:2 */
v_perm_b32 v[vgprValuA_X0_I0+12], v[vgprValuA_X0_I0_D1+3], v[vgprValuA_X0_I0_D0+3], s[sgprPackKForV0] // select K=01 for vector=0
v_perm_b32 v[vgprValuA_X0_I0+13], v[vgprValuA_X0_I0_D3+3], v[vgprValuA_X0_I0_D2+3], s[sgprPackKForV0] // select K=23 for vector=0
v_mfma_f32_16x16x16_f16 a[20+0:23+0], v[vgprValuB_X0_I0+0+0+0:vgprValuB_X0_I0+0+0+0+1], v[vgprValuA_X0_I0+10+0+0:vgprValuA_X0_I0+10+0+0+1], a[20:23]
/*  mfmaIndex:6  */
_ds_load_b64 v[vgprValuB_X1_I0_D1+0:vgprValuB_X1_I0_D1+0+1], v[vgprLocalReadAddrB] offset:8704 // L -> Reg lro=4096 swapByteOffset=0 ti=128 vIdx=0 rIdx=1 oIdx=0 buffer=1 iui=0
s_cmov_b32 s[sgprSrdA+2], s[sgprShadowLimitA+0]    // Move shadow to real if we are within 2^32
/* pack scheduling: packAIdx:14, packBIdx:2 */
v_perm_b32 v[vgprValuA_X0_I0+14], v[vgprValuA_X0_I0_D1+3], v[vgprValuA_X0_I0_D0+3], s[sgprPackKForV1] // select K=01 for vector=1
v_perm_b32 v[vgprValuA_X0_I0+15], v[vgprValuA_X0_I0_D3+3], v[vgprValuA_X0_I0_D2+3], s[sgprPackKForV1] // select K=23 for vector=1
v_mfma_f32_16x16x16_f16 a[24+0:27+0], v[vgprValuB_X0_I0+0+0+0:vgprValuB_X0_I0+0+0+0+1], v[vgprValuA_X0_I0+12+0+0:vgprValuA_X0_I0+12+0+0+1], a[24:27]
/*  mfmaIndex:7  */
_ds_load_b64 v[vgprValuB_X1_I0_D2+0:vgprValuB_X1_I0_D2+0+1], v[vgprLocalReadAddrB] offset:9216 // L -> Reg lro=4096 swapByteOffset=0 ti=128 vIdx=0 rIdx=2 oIdx=0 buffer=1 iui=0

/* global read inc B loopL */
s_add_u32 s[sgprSrdB+0], s[sgprSrdB+0], s[sgprGlobalReadIncsB+0] // gra SRD += inc(lower)
/* pack scheduling: packAIdx:16, packBIdx:2 */
v_perm_b32 v[vgprValuB_X0_I0+2], v[vgprValuB_X0_I0_D1+0], v[vgprValuB_X0_I0_D0+0], s[sgprPackKForV1] // select K=01 for vector=1
v_perm_b32 v[vgprValuB_X0_I0+3], v[vgprValuB_X0_I0_D3+0], v[vgprValuB_X0_I0_D2+0], s[sgprPackKForV1] // select K=23 for vector=1
v_mfma_f32_16x16x16_f16 a[28+0:31+0], v[vgprValuB_X0_I0+0+0+0:vgprValuB_X0_I0+0+0+0+1], v[vgprValuA_X0_I0+14+0+0:vgprValuA_X0_I0+14+0+0+1], a[28:31]
/*  mfmaIndex:8  */
_ds_load_b64 v[vgprValuB_X1_I0_D3+0:vgprValuB_X1_I0_D3+0+1], v[vgprLocalReadAddrB] offset:9728 // L -> Reg lro=4096 swapByteOffset=0 ti=128 vIdx=0 rIdx=3 oIdx=0 buffer=1 iui=0
s_addc_u32  s[sgprSrdB+1], s[sgprSrdB+1], 0        // gra SRD += inc(upper)
/* pack scheduling: packAIdx:16, packBIdx:4 */
v_perm_b32 v[vgprValuB_X0_I0+4], v[vgprValuB_X0_I0_D1+1], v[vgprValuB_X0_I0_D0+1], s[sgprPackKForV0] // select K=01 for vector=0
v_perm_b32 v[vgprValuB_X0_I0+5], v[vgprValuB_X0_I0_D3+1], v[vgprValuB_X0_I0_D2+1], s[sgprPackKForV0] // select K=23 for vector=0
v_mfma_f32_16x16x16_f16 a[60+0:63+0], v[vgprValuB_X0_I0+2+0+0:vgprValuB_X0_I0+2+0+0+1], v[vgprValuA_X0_I0+14+0+0:vgprValuA_X0_I0+14+0+0+1], a[60:63]
/*  mfmaIndex:9  */
_ds_load_b64 v[vgprValuA_X1_I0_D0+2:vgprValuA_X1_I0_D0+2+1], v[vgprLocalReadAddrA] offset:8448 // L -> Reg lro=4096 swapByteOffset=0 ti=128 vIdx=1 rIdx=0 oIdx=0 buffer=1 iui=0
s_sub_u32 s[sgprShadowLimitB+0], s[sgprShadowLimitB+0], s[sgprGlobalReadIncsB+0] // limit -= inc)
/* pack scheduling: packAIdx:16, packBIdx:4 */
v_perm_b32 v[vgprValuB_X0_I0+6], v[vgprValuB_X0_I0_D1+1], v[vgprValuB_X0_I0_D0+1], s[sgprPackKForV1] // select K=01 for vector=1
v_perm_b32 v[vgprValuB_X0_I0+7], v[vgprValuB_X0_I0_D3+1], v[vgprValuB_X0_I0_D2+1], s[sgprPackKForV1] // select K=23 for vector=1
v_mfma_f32_16x16x16_f16 a[56+0:59+0], v[vgprValuB_X0_I0+2+0+0:vgprValuB_X0_I0+2+0+0+1], v[vgprValuA_X0_I0+12+0+0:vgprValuA_X0_I0+12+0+0+1], a[56:59]
/*  mfmaIndex:10  */
_ds_load_b64 v[vgprValuA_X1_I0_D1+2:vgprValuA_X1_I0_D1+2+1], v[vgprLocalReadAddrA] offset:8960 // L -> Reg lro=4096 swapByteOffset=0 ti=128 vIdx=1 rIdx=1 oIdx=0 buffer=1 iui=0
s_subb_u32 s[sgprShadowLimitB+1], s[sgprShadowLimitB+1], 0 // limit -= inc)
/* pack scheduling: packAIdx:16, packBIdx:4 */
v_perm_b32 v[vgprValuB_X0_I0+8], v[vgprValuB_X0_I0_D1+2], v[vgprValuB_X0_I0_D0+2], s[sgprPackKForV0] // select K=01 for vector=0
v_perm_b32 v[vgprValuB_X0_I0+9], v[vgprValuB_X0_I0_D3+2], v[vgprValuB_X0_I0_D2+2], s[sgprPackKForV0] // select K=23 for vector=0
v_mfma_f32_16x16x16_f16 a[52+0:55+0], v[vgprValuB_X0_I0+2+0+0:vgprValuB_X0_I0+2+0+0+1], v[vgprValuA_X0_I0+10+0+0:vgprValuA_X0_I0+10+0+0+1], a[52:55]
/*  mfmaIndex:11  */
_ds_load_b64 v[vgprValuA_X1_I0_D2+2:vgprValuA_X1_I0_D2+2+1], v[vgprLocalReadAddrA] offset:9472 // L -> Reg lro=4096 swapByteOffset=0 ti=128 vIdx=1 rIdx=2 oIdx=0 buffer=1 iui=0
s_cmp_eq_u32 s[sgprShadowLimitB+1], 0              // are we within 2^32?
/* pack scheduling: packAIdx:16, packBIdx:4 */
v_perm_b32 v[vgprValuB_X0_I0+10], v[vgprValuB_X0_I0_D1+2], v[vgprValuB_X0_I0_D0+2], s[sgprPackKForV1] // select K=01 for vector=1
v_perm_b32 v[vgprValuB_X0_I0+11], v[vgprValuB_X0_I0_D3+2], v[vgprValuB_X0_I0_D2+2], s[sgprPackKForV1] // select K=23 for vector=1
v_mfma_f32_16x16x16_f16 a[48+0:51+0], v[vgprValuB_X0_I0+2+0+0:vgprValuB_X0_I0+2+0+0+1], v[vgprValuA_X0_I0+8+0+0:vgprValuA_X0_I0+8+0+0+1], a[48:51]
/*  mfmaIndex:12  */
_ds_load_b64 v[vgprValuA_X1_I0_D3+2:vgprValuA_X1_I0_D3+2+1], v[vgprLocalReadAddrA] offset:9984 // L -> Reg lro=4096 swapByteOffset=0 ti=128 vIdx=1 rIdx=3 oIdx=0 buffer=1 iui=0
s_cmov_b32 s[sgprSrdB+2], s[sgprShadowLimitB+0]    // Move shadow to real if we are within 2^32
/* pack scheduling: packAIdx:16, packBIdx:4 */
v_perm_b32 v[vgprValuB_X0_I0+12], v[vgprValuB_X0_I0_D1+3], v[vgprValuB_X0_I0_D0+3], s[sgprPackKForV0] // select K=01 for vector=0
v_perm_b32 v[vgprValuB_X0_I0+13], v[vgprValuB_X0_I0_D3+3], v[vgprValuB_X0_I0_D2+3], s[sgprPackKForV0] // select K=23 for vector=0
v_mfma_f32_16x16x16_f16 a[44+0:47+0], v[vgprValuB_X0_I0+2+0+0:vgprValuB_X0_I0+2+0+0+1], v[vgprValuA_X0_I0+6+0+0:vgprValuA_X0_I0+6+0+0+1], a[44:47]
/*  mfmaIndex:13  */
_ds_load_b64 v[vgprValuB_X1_I0_D0+2:vgprValuB_X1_I0_D0+2+1], v[vgprLocalReadAddrB] offset:8448 // L -> Reg lro=4096 swapByteOffset=0 ti=128 vIdx=1 rIdx=0 oIdx=0 buffer=1 iui=0
/* pack scheduling: packAIdx:16, packBIdx:4 */
v_perm_b32 v[vgprValuB_X0_I0+14], v[vgprValuB_X0_I0_D1+3], v[vgprValuB_X0_I0_D0+3], s[sgprPackKForV1] // select K=01 for vector=1
v_perm_b32 v[vgprValuB_X0_I0+15], v[vgprValuB_X0_I0_D3+3], v[vgprValuB_X0_I0_D2+3], s[sgprPackKForV1] // select K=23 for vector=1
v_mfma_f32_16x16x16_f16 a[40+0:43+0], v[vgprValuB_X0_I0+2+0+0:vgprValuB_X0_I0+2+0+0+1], v[vgprValuA_X0_I0+4+0+0:vgprValuA_X0_I0+4+0+0+1], a[40:43]
/*  mfmaIndex:14  */
_ds_load_b64 v[vgprValuB_X1_I0_D1+2:vgprValuB_X1_I0_D1+2+1], v[vgprLocalReadAddrB] offset:8960 // L -> Reg lro=4096 swapByteOffset=0 ti=128 vIdx=1 rIdx=1 oIdx=0 buffer=1 iui=0
v_mfma_f32_16x16x16_f16 a[36+0:39+0], v[vgprValuB_X0_I0+2+0+0:vgprValuB_X0_I0+2+0+0+1], v[vgprValuA_X0_I0+2+0+0:vgprValuA_X0_I0+2+0+0+1], a[36:39]
/*  mfmaIndex:15  */
_ds_load_b64 v[vgprValuB_X1_I0_D2+2:vgprValuB_X1_I0_D2+2+1], v[vgprLocalReadAddrB] offset:9472 // L -> Reg lro=4096 swapByteOffset=0 ti=128 vIdx=1 rIdx=2 oIdx=0 buffer=1 iui=0
v_mfma_f32_16x16x16_f16 a[32+0:35+0], v[vgprValuB_X0_I0+2+0+0:vgprValuB_X0_I0+2+0+0+1], v[vgprValuA_X0_I0+0+0+0:vgprValuA_X0_I0+0+0+0+1], a[32:35]
/*  mfmaIndex:16  */
_ds_load_b64 v[vgprValuB_X1_I0_D3+2:vgprValuB_X1_I0_D3+2+1], v[vgprLocalReadAddrB] offset:9984 // L -> Reg lro=4096 swapByteOffset=0 ti=128 vIdx=1 rIdx=3 oIdx=0 buffer=1 iui=0
v_mfma_f32_16x16x16_f16 a[64+0:67+0], v[vgprValuB_X0_I0+4+0+0:vgprValuB_X0_I0+4+0+0+1], v[vgprValuA_X0_I0+0+0+0:vgprValuA_X0_I0+0+0+0+1], a[64:67]
/*  mfmaIndex:17  */
/* localReadsVacancy: latencyLeft 2 */
_ds_load_b64 v[vgprValuA_X2_I0_D0+0:vgprValuA_X2_I0_D0+0+1], v[vgprLocalReadAddrA] offset:16384 // L -> Reg lro=8192 swapByteOffset=0 ti=128 vIdx=0 rIdx=0 oIdx=0 buffer=2 iui=0
v_mfma_f32_16x16x16_f16 a[68+0:71+0], v[vgprValuB_X0_I0+4+0+0:vgprValuB_X0_I0+4+0+0+1], v[vgprValuA_X0_I0+2+0+0:vgprValuA_X0_I0+2+0+0+1], a[68:71]
/*  mfmaIndex:18  */
/* localReadsVacancy: latencyLeft 2 */
_ds_load_b64 v[vgprValuA_X2_I0_D1+0:vgprValuA_X2_I0_D1+0+1], v[vgprLocalReadAddrA] offset:16896 // L -> Reg lro=8192 swapByteOffset=0 ti=128 vIdx=0 rIdx=1 oIdx=0 buffer=2 iui=0
v_mfma_f32_16x16x16_f16 a[72+0:75+0], v[vgprValuB_X0_I0+4+0+0:vgprValuB_X0_I0+4+0+0+1], v[vgprValuA_X0_I0+4+0+0:vgprValuA_X0_I0+4+0+0+1], a[72:75]
/*  mfmaIndex:19  */
/* localReadsVacancy: latencyLeft 2 */
_ds_load_b64 v[vgprValuA_X2_I0_D2+0:vgprValuA_X2_I0_D2+0+1], v[vgprLocalReadAddrA] offset:17408 // L -> Reg lro=8192 swapByteOffset=0 ti=128 vIdx=0 rIdx=2 oIdx=0 buffer=2 iui=0
v_mfma_f32_16x16x16_f16 a[76+0:79+0], v[vgprValuB_X0_I0+4+0+0:vgprValuB_X0_I0+4+0+0+1], v[vgprValuA_X0_I0+6+0+0:vgprValuA_X0_I0+6+0+0+1], a[76:79]
/*  mfmaIndex:20  */
/* localReadsVacancy: latencyLeft 2 */
_ds_load_b64 v[vgprValuA_X2_I0_D3+0:vgprValuA_X2_I0_D3+0+1], v[vgprLocalReadAddrA] offset:17920 // L -> Reg lro=8192 swapByteOffset=0 ti=128 vIdx=0 rIdx=3 oIdx=0 buffer=2 iui=0
v_mfma_f32_16x16x16_f16 a[80+0:83+0], v[vgprValuB_X0_I0+4+0+0:vgprValuB_X0_I0+4+0+0+1], v[vgprValuA_X0_I0+8+0+0:vgprValuA_X0_I0+8+0+0+1], a[80:83]
/*  mfmaIndex:21  */
/* localReadsVacancy: latencyLeft 2 */
_ds_load_b64 v[vgprValuB_X2_I0_D0+0:vgprValuB_X2_I0_D0+0+1], v[vgprLocalReadAddrB] offset:16384 // L -> Reg lro=8192 swapByteOffset=0 ti=128 vIdx=0 rIdx=0 oIdx=0 buffer=2 iui=0
v_mfma_f32_16x16x16_f16 a[84+0:87+0], v[vgprValuB_X0_I0+4+0+0:vgprValuB_X0_I0+4+0+0+1], v[vgprValuA_X0_I0+10+0+0:vgprValuA_X0_I0+10+0+0+1], a[84:87]
/*  mfmaIndex:22  */
/* localReadsVacancy: latencyLeft 2 */
_ds_load_b64 v[vgprValuB_X2_I0_D1+0:vgprValuB_X2_I0_D1+0+1], v[vgprLocalReadAddrB] offset:16896 // L -> Reg lro=8192 swapByteOffset=0 ti=128 vIdx=0 rIdx=1 oIdx=0 buffer=2 iui=0
v_mfma_f32_16x16x16_f16 a[88+0:91+0], v[vgprValuB_X0_I0+4+0+0:vgprValuB_X0_I0+4+0+0+1], v[vgprValuA_X0_I0+12+0+0:vgprValuA_X0_I0+12+0+0+1], a[88:91]
/*  mfmaIndex:23  */
/* localReadsVacancy: latencyLeft 2 */
_ds_load_b64 v[vgprValuB_X2_I0_D2+0:vgprValuB_X2_I0_D2+0+1], v[vgprLocalReadAddrB] offset:17408 // L -> Reg lro=8192 swapByteOffset=0 ti=128 vIdx=0 rIdx=2 oIdx=0 buffer=2 iui=0
v_mfma_f32_16x16x16_f16 a[92+0:95+0], v[vgprValuB_X0_I0+4+0+0:vgprValuB_X0_I0+4+0+0+1], v[vgprValuA_X0_I0+14+0+0:vgprValuA_X0_I0+14+0+0+1], a[92:95]
/*  mfmaIndex:24  */
/* localReadsVacancy: latencyLeft 2 */
_ds_load_b64 v[vgprValuB_X2_I0_D3+0:vgprValuB_X2_I0_D3+0+1], v[vgprLocalReadAddrB] offset:17920 // L -> Reg lro=8192 swapByteOffset=0 ti=128 vIdx=0 rIdx=3 oIdx=0 buffer=2 iui=0
v_mfma_f32_16x16x16_f16 a[124+0:127+0], v[vgprValuB_X0_I0+6+0+0:vgprValuB_X0_I0+6+0+0+1], v[vgprValuA_X0_I0+14+0+0:vgprValuA_X0_I0+14+0+0+1], a[124:127]
/*  mfmaIndex:25  */
/* localReadsVacancy: latencyLeft 2 */
_ds_load_b64 v[vgprValuA_X2_I0_D0+2:vgprValuA_X2_I0_D0+2+1], v[vgprLocalReadAddrA] offset:16640 // L -> Reg lro=8192 swapByteOffset=0 ti=128 vIdx=1 rIdx=0 oIdx=0 buffer=2 iui=0
v_mfma_f32_16x16x16_f16 a[120+0:123+0], v[vgprValuB_X0_I0+6+0+0:vgprValuB_X0_I0+6+0+0+1], v[vgprValuA_X0_I0+12+0+0:vgprValuA_X0_I0+12+0+0+1], a[120:123]
/*  mfmaIndex:26  */
/* localReadsVacancy: latencyLeft 2 */
_ds_load_b64 v[vgprValuA_X2_I0_D1+2:vgprValuA_X2_I0_D1+2+1], v[vgprLocalReadAddrA] offset:17152 // L -> Reg lro=8192 swapByteOffset=0 ti=128 vIdx=1 rIdx=1 oIdx=0 buffer=2 iui=0
v_mfma_f32_16x16x16_f16 a[116+0:119+0], v[vgprValuB_X0_I0+6+0+0:vgprValuB_X0_I0+6+0+0+1], v[vgprValuA_X0_I0+10+0+0:vgprValuA_X0_I0+10+0+0+1], a[116:119]
/*  mfmaIndex:27  */
/* localReadsVacancy: latencyLeft 2 */
_ds_load_b64 v[vgprValuA_X2_I0_D2+2:vgprValuA_X2_I0_D2+2+1], v[vgprLocalReadAddrA] offset:17664 // L -> Reg lro=8192 swapByteOffset=0 ti=128 vIdx=1 rIdx=2 oIdx=0 buffer=2 iui=0
v_mfma_f32_16x16x16_f16 a[112+0:115+0], v[vgprValuB_X0_I0+6+0+0:vgprValuB_X0_I0+6+0+0+1], v[vgprValuA_X0_I0+8+0+0:vgprValuA_X0_I0+8+0+0+1], a[112:115]
/*  mfmaIndex:28  */
/* localReadsVacancy: latencyLeft 2 */
_ds_load_b64 v[vgprValuA_X2_I0_D3+2:vgprValuA_X2_I0_D3+2+1], v[vgprLocalReadAddrA] offset:18176 // L -> Reg lro=8192 swapByteOffset=0 ti=128 vIdx=1 rIdx=3 oIdx=0 buffer=2 iui=0
v_mfma_f32_16x16x16_f16 a[108+0:111+0], v[vgprValuB_X0_I0+6+0+0:vgprValuB_X0_I0+6+0+0+1], v[vgprValuA_X0_I0+6+0+0:vgprValuA_X0_I0+6+0+0+1], a[108:111]
/*  mfmaIndex:29  */
/* localReadsVacancy: latencyLeft 2 */
_ds_load_b64 v[vgprValuB_X2_I0_D0+2:vgprValuB_X2_I0_D0+2+1], v[vgprLocalReadAddrB] offset:16640 // L -> Reg lro=8192 swapByteOffset=0 ti=128 vIdx=1 rIdx=0 oIdx=0 buffer=2 iui=0
v_mfma_f32_16x16x16_f16 a[104+0:107+0], v[vgprValuB_X0_I0+6+0+0:vgprValuB_X0_I0+6+0+0+1], v[vgprValuA_X0_I0+4+0+0:vgprValuA_X0_I0+4+0+0+1], a[104:107]
/*  mfmaIndex:30  */
/* localReadsVacancy: latencyLeft 2 */
_ds_load_b64 v[vgprValuB_X2_I0_D1+2:vgprValuB_X2_I0_D1+2+1], v[vgprLocalReadAddrB] offset:17152 // L -> Reg lro=8192 swapByteOffset=0 ti=128 vIdx=1 rIdx=1 oIdx=0 buffer=2 iui=0
v_mfma_f32_16x16x16_f16 a[100+0:103+0], v[vgprValuB_X0_I0+6+0+0:vgprValuB_X0_I0+6+0+0+1], v[vgprValuA_X0_I0+2+0+0:vgprValuA_X0_I0+2+0+0+1], a[100:103]
/*  mfmaIndex:31  */
/* localReadsVacancy: latencyLeft 2 */
_ds_load_b64 v[vgprValuB_X2_I0_D2+2:vgprValuB_X2_I0_D2+2+1], v[vgprLocalReadAddrB] offset:17664 // L -> Reg lro=8192 swapByteOffset=0 ti=128 vIdx=1 rIdx=2 oIdx=0 buffer=2 iui=0
v_mfma_f32_16x16x16_f16 a[96+0:99+0], v[vgprValuB_X0_I0+6+0+0:vgprValuB_X0_I0+6+0+0+1], v[vgprValuA_X0_I0+0+0+0:vgprValuA_X0_I0+0+0+0+1], a[96:99]
/*  mfmaIndex:32  */
/* localReadsVacancy: latencyLeft 2 */
_ds_load_b64 v[vgprValuB_X2_I0_D3+2:vgprValuB_X2_I0_D3+2+1], v[vgprLocalReadAddrB] offset:18176 // L -> Reg lro=8192 swapByteOffset=0 ti=128 vIdx=1 rIdx=3 oIdx=0 buffer=2 iui=0
v_mfma_f32_16x16x16_f16 a[128+0:131+0], v[vgprValuB_X0_I0+8+0+0:vgprValuB_X0_I0+8+0+0+1], v[vgprValuA_X0_I0+0+0+0:vgprValuA_X0_I0+0+0+0+1], a[128:131]
/*  mfmaIndex:33  */
/* localReadsVacancy: latencyLeft 2 */
_ds_load_b64 v[vgprValuA_X3_I0_D0+0:vgprValuA_X3_I0_D0+0+1], v[vgprLocalReadAddrA] offset:24576 // L -> Reg lro=12288 swapByteOffset=0 ti=128 vIdx=0 rIdx=0 oIdx=0 buffer=3 iui=0
v_mfma_f32_16x16x16_f16 a[132+0:135+0], v[vgprValuB_X0_I0+8+0+0:vgprValuB_X0_I0+8+0+0+1], v[vgprValuA_X0_I0+2+0+0:vgprValuA_X0_I0+2+0+0+1], a[132:135]
/*  mfmaIndex:34  */
/* localReadsVacancy: latencyLeft 2 */
_ds_load_b64 v[vgprValuA_X3_I0_D1+0:vgprValuA_X3_I0_D1+0+1], v[vgprLocalReadAddrA] offset:25088 // L -> Reg lro=12288 swapByteOffset=0 ti=128 vIdx=0 rIdx=1 oIdx=0 buffer=3 iui=0
v_mfma_f32_16x16x16_f16 a[136+0:139+0], v[vgprValuB_X0_I0+8+0+0:vgprValuB_X0_I0+8+0+0+1], v[vgprValuA_X0_I0+4+0+0:vgprValuA_X0_I0+4+0+0+1], a[136:139]
/*  mfmaIndex:35  */
/* localReadsVacancy: latencyLeft 2 */
_ds_load_b64 v[vgprValuA_X3_I0_D2+0:vgprValuA_X3_I0_D2+0+1], v[vgprLocalReadAddrA] offset:25600 // L -> Reg lro=12288 swapByteOffset=0 ti=128 vIdx=0 rIdx=2 oIdx=0 buffer=3 iui=0
v_mfma_f32_16x16x16_f16 a[140+0:143+0], v[vgprValuB_X0_I0+8+0+0:vgprValuB_X0_I0+8+0+0+1], v[vgprValuA_X0_I0+6+0+0:vgprValuA_X0_I0+6+0+0+1], a[140:143]
/*  mfmaIndex:36  */
/* localReadsVacancy: latencyLeft 2 */
_ds_load_b64 v[vgprValuA_X3_I0_D3+0:vgprValuA_X3_I0_D3+0+1], v[vgprLocalReadAddrA] offset:26112 // L -> Reg lro=12288 swapByteOffset=0 ti=128 vIdx=0 rIdx=3 oIdx=0 buffer=3 iui=0
v_mfma_f32_16x16x16_f16 a[144+0:147+0], v[vgprValuB_X0_I0+8+0+0:vgprValuB_X0_I0+8+0+0+1], v[vgprValuA_X0_I0+8+0+0:vgprValuA_X0_I0+8+0+0+1], a[144:147]
/*  mfmaIndex:37  */
/* localReadsVacancy: latencyLeft 2 */
_ds_load_b64 v[vgprValuB_X3_I0_D0+0:vgprValuB_X3_I0_D0+0+1], v[vgprLocalReadAddrB] offset:24576 // L -> Reg lro=12288 swapByteOffset=0 ti=128 vIdx=0 rIdx=0 oIdx=0 buffer=3 iui=0
v_mfma_f32_16x16x16_f16 a[148+0:151+0], v[vgprValuB_X0_I0+8+0+0:vgprValuB_X0_I0+8+0+0+1], v[vgprValuA_X0_I0+10+0+0:vgprValuA_X0_I0+10+0+0+1], a[148:151]
/*  mfmaIndex:38  */
/* localReadsVacancy: latencyLeft 2 */
_ds_load_b64 v[vgprValuB_X3_I0_D1+0:vgprValuB_X3_I0_D1+0+1], v[vgprLocalReadAddrB] offset:25088 // L -> Reg lro=12288 swapByteOffset=0 ti=128 vIdx=0 rIdx=1 oIdx=0 buffer=3 iui=0
v_mfma_f32_16x16x16_f16 a[152+0:155+0], v[vgprValuB_X0_I0+8+0+0:vgprValuB_X0_I0+8+0+0+1], v[vgprValuA_X0_I0+12+0+0:vgprValuA_X0_I0+12+0+0+1], a[152:155]
/*  mfmaIndex:39  */
/* localReadsVacancy: latencyLeft 2 */
_ds_load_b64 v[vgprValuB_X3_I0_D2+0:vgprValuB_X3_I0_D2+0+1], v[vgprLocalReadAddrB] offset:25600 // L -> Reg lro=12288 swapByteOffset=0 ti=128 vIdx=0 rIdx=2 oIdx=0 buffer=3 iui=0
v_mfma_f32_16x16x16_f16 a[156+0:159+0], v[vgprValuB_X0_I0+8+0+0:vgprValuB_X0_I0+8+0+0+1], v[vgprValuA_X0_I0+14+0+0:vgprValuA_X0_I0+14+0+0+1], a[156:159]
/*  mfmaIndex:40  */
/* localReadsVacancy: latencyLeft 2 */
_ds_load_b64 v[vgprValuB_X3_I0_D3+0:vgprValuB_X3_I0_D3+0+1], v[vgprLocalReadAddrB] offset:26112 // L -> Reg lro=12288 swapByteOffset=0 ti=128 vIdx=0 rIdx=3 oIdx=0 buffer=3 iui=0
v_mfma_f32_16x16x16_f16 a[188+0:191+0], v[vgprValuB_X0_I0+10+0+0:vgprValuB_X0_I0+10+0+0+1], v[vgprValuA_X0_I0+14+0+0:vgprValuA_X0_I0+14+0+0+1], a[188:191]
/*  mfmaIndex:41  */
/* localReadsVacancy: latencyLeft 2 */
_ds_load_b64 v[vgprValuA_X3_I0_D0+2:vgprValuA_X3_I0_D0+2+1], v[vgprLocalReadAddrA] offset:24832 // L -> Reg lro=12288 swapByteOffset=0 ti=128 vIdx=1 rIdx=0 oIdx=0 buffer=3 iui=0
v_mfma_f32_16x16x16_f16 a[184+0:187+0], v[vgprValuB_X0_I0+10+0+0:vgprValuB_X0_I0+10+0+0+1], v[vgprValuA_X0_I0+12+0+0:vgprValuA_X0_I0+12+0+0+1], a[184:187]
/*  mfmaIndex:42  */
/* localReadsVacancy: latencyLeft 2 */
_ds_load_b64 v[vgprValuA_X3_I0_D1+2:vgprValuA_X3_I0_D1+2+1], v[vgprLocalReadAddrA] offset:25344 // L -> Reg lro=12288 swapByteOffset=0 ti=128 vIdx=1 rIdx=1 oIdx=0 buffer=3 iui=0
v_mfma_f32_16x16x16_f16 a[180+0:183+0], v[vgprValuB_X0_I0+10+0+0:vgprValuB_X0_I0+10+0+0+1], v[vgprValuA_X0_I0+10+0+0:vgprValuA_X0_I0+10+0+0+1], a[180:183]
/*  mfmaIndex:43  */
/* localReadsVacancy: latencyLeft 2 */
_ds_load_b64 v[vgprValuA_X3_I0_D2+2:vgprValuA_X3_I0_D2+2+1], v[vgprLocalReadAddrA] offset:25856 // L -> Reg lro=12288 swapByteOffset=0 ti=128 vIdx=1 rIdx=2 oIdx=0 buffer=3 iui=0
v_mfma_f32_16x16x16_f16 a[176+0:179+0], v[vgprValuB_X0_I0+10+0+0:vgprValuB_X0_I0+10+0+0+1], v[vgprValuA_X0_I0+8+0+0:vgprValuA_X0_I0+8+0+0+1], a[176:179]
/*  mfmaIndex:44  */
/* localReadsVacancy: latencyLeft 2 */
_ds_load_b64 v[vgprValuA_X3_I0_D3+2:vgprValuA_X3_I0_D3+2+1], v[vgprLocalReadAddrA] offset:26368 // L -> Reg lro=12288 swapByteOffset=0 ti=128 vIdx=1 rIdx=3 oIdx=0 buffer=3 iui=0
v_mfma_f32_16x16x16_f16 a[172+0:175+0], v[vgprValuB_X0_I0+10+0+0:vgprValuB_X0_I0+10+0+0+1], v[vgprValuA_X0_I0+6+0+0:vgprValuA_X0_I0+6+0+0+1], a[172:175]
/*  mfmaIndex:45  */
/* localReadsVacancy: latencyLeft 2 */
_ds_load_b64 v[vgprValuB_X3_I0_D0+2:vgprValuB_X3_I0_D0+2+1], v[vgprLocalReadAddrB] offset:24832 // L -> Reg lro=12288 swapByteOffset=0 ti=128 vIdx=1 rIdx=0 oIdx=0 buffer=3 iui=0
v_mfma_f32_16x16x16_f16 a[168+0:171+0], v[vgprValuB_X0_I0+10+0+0:vgprValuB_X0_I0+10+0+0+1], v[vgprValuA_X0_I0+4+0+0:vgprValuA_X0_I0+4+0+0+1], a[168:171]
/*  mfmaIndex:46  */
/* localReadsVacancy: latencyLeft 2 */
_ds_load_b64 v[vgprValuB_X3_I0_D1+2:vgprValuB_X3_I0_D1+2+1], v[vgprLocalReadAddrB] offset:25344 // L -> Reg lro=12288 swapByteOffset=0 ti=128 vIdx=1 rIdx=1 oIdx=0 buffer=3 iui=0
v_mfma_f32_16x16x16_f16 a[164+0:167+0], v[vgprValuB_X0_I0+10+0+0:vgprValuB_X0_I0+10+0+0+1], v[vgprValuA_X0_I0+2+0+0:vgprValuA_X0_I0+2+0+0+1], a[164:167]
/*  mfmaIndex:47  */
/* localReadsVacancy: latencyLeft 2 */
_ds_load_b64 v[vgprValuB_X3_I0_D2+2:vgprValuB_X3_I0_D2+2+1], v[vgprLocalReadAddrB] offset:25856 // L -> Reg lro=12288 swapByteOffset=0 ti=128 vIdx=1 rIdx=2 oIdx=0 buffer=3 iui=0
v_mfma_f32_16x16x16_f16 a[160+0:163+0], v[vgprValuB_X0_I0+10+0+0:vgprValuB_X0_I0+10+0+0+1], v[vgprValuA_X0_I0+0+0+0:vgprValuA_X0_I0+0+0+0+1], a[160:163]
/*  mfmaIndex:48  */
/* localReadsVacancy: latencyLeft 2 */
_ds_load_b64 v[vgprValuB_X3_I0_D3+2:vgprValuB_X3_I0_D3+2+1], v[vgprLocalReadAddrB] offset:26368 // L -> Reg lro=12288 swapByteOffset=0 ti=128 vIdx=1 rIdx=3 oIdx=0 buffer=3 iui=0
v_mfma_f32_16x16x16_f16 a[192+0:195+0], v[vgprValuB_X0_I0+12+0+0:vgprValuB_X0_I0+12+0+0+1], v[vgprValuA_X0_I0+0+0+0:vgprValuA_X0_I0+0+0+0+1], a[192:195]
/*  mfmaIndex:49  */
/* localReadsVacancy: latencyLeft 2 */
v_mfma_f32_16x16x16_f16 a[196+0:199+0], v[vgprValuB_X0_I0+12+0+0:vgprValuB_X0_I0+12+0+0+1], v[vgprValuA_X0_I0+2+0+0:vgprValuA_X0_I0+2+0+0+1], a[196:199]
/*  mfmaIndex:50  */
/* localReadsVacancy: latencyLeft 2 */
	;; [unrolled: 3-line block ×12, first 2 shown]
/* 1 LDS buffer: read-sync-write */
s_waitcnt lgkmcnt(0)                               // 
s_barrier                                          // 
v_mfma_f32_16x16x16_f16 a[236+0:239+0], v[vgprValuB_X0_I0+14+0+0:vgprValuB_X0_I0+14+0+0+1], v[vgprValuA_X0_I0+6+0+0:vgprValuA_X0_I0+6+0+0+1], a[236:239]
/*  mfmaIndex:61  */
s_setprio 3                                        // store optimization
/* sched write - iter 0 writesPerItem=1 */
s_waitcnt vmcnt(0)                                 // lgkmcnt=-1 vmcnt=0wait for global read before writing to local
_ds_store_b128 v[vgprLocalWriteAddrA], v[vgprG2LA+0:vgprG2LA+0+3] offset:0 // lwoA_0_0_0_0 = (0*LSCA) + (0*LSPA)(*MT0I+PAD) = 0
v_mfma_f32_16x16x16_f16 a[232+0:235+0], v[vgprValuB_X0_I0+14+0+0:vgprValuB_X0_I0+14+0+0+1], v[vgprValuA_X0_I0+4+0+0:vgprValuA_X0_I0+4+0+0+1], a[232:235]
/*  mfmaIndex:62  */
_buffer_load_b128 v[vgprG2LA+0:vgprG2LA+0+3], v[vgprGlobalReadOffsetA+0], s[sgprSrdA:sgprSrdA+3], 0, offen offset:0 // G -> Reg 0_0_0_0
v_mfma_f32_16x16x16_f16 a[228+0:231+0], v[vgprValuB_X0_I0+14+0+0:vgprValuB_X0_I0+14+0+0+1], v[vgprValuA_X0_I0+2+0+0:vgprValuA_X0_I0+2+0+0+1], a[228:231]
/*  mfmaIndex:63  */
v_mfma_f32_16x16x16_f16 a[224+0:227+0], v[vgprValuB_X0_I0+14+0+0:vgprValuB_X0_I0+14+0+0+1], v[vgprValuA_X0_I0+0+0+0:vgprValuA_X0_I0+0+0+0+1], a[224:227]
/* numPrefetchIter=0 */
/* dataAtIterA=-1 numReadsIterA=1 skipReadsIterA=1 readsPerIterA=8 */
/* dataAtIterB=-1 numReadsIterB=1 skipReadsIterB=1 readsPerIterB=8 */


/* iter 1 */

/*  grEndMfmaIndex:12, lwStartMfmaIndex:61, lwEndMfmaIndex:228  */
/*  numMfmaForLR:22, barrierMfmaIndex:233, LocalWritePerMfma:0.090 */
/*  mfmaIndex:64  */
/* pack scheduling: packAIdx:2, packBIdx:2 */
v_perm_b32 v[vgprValuA_X1_I0+0], v[vgprValuA_X1_I0_D1+0], v[vgprValuA_X1_I0_D0+0], s[sgprPackKForV0] // select K=01 for vector=0
v_perm_b32 v[vgprValuA_X1_I0+1], v[vgprValuA_X1_I0_D3+0], v[vgprValuA_X1_I0_D2+0], s[sgprPackKForV0] // select K=23 for vector=0
v_perm_b32 v[vgprValuB_X1_I0+0], v[vgprValuB_X1_I0_D1+0], v[vgprValuB_X1_I0_D0+0], s[sgprPackKForV0] // select K=01 for vector=0
v_perm_b32 v[vgprValuB_X1_I0+1], v[vgprValuB_X1_I0_D3+0], v[vgprValuB_X1_I0_D2+0], s[sgprPackKForV0] // select K=23 for vector=0
v_perm_b32 v[vgprValuA_X1_I0+2], v[vgprValuA_X1_I0_D1+0], v[vgprValuA_X1_I0_D0+0], s[sgprPackKForV1] // select K=01 for vector=1
v_perm_b32 v[vgprValuA_X1_I0+3], v[vgprValuA_X1_I0_D3+0], v[vgprValuA_X1_I0_D2+0], s[sgprPackKForV1] // select K=23 for vector=1
v_mfma_f32_16x16x16_f16 a[0+0:3+0], v[vgprValuB_X1_I0+0+0+0:vgprValuB_X1_I0+0+0+0+1], v[vgprValuA_X1_I0+0+0+0:vgprValuA_X1_I0+0+0+0+1], a[0:3]
/*  mfmaIndex:65  */
/* pack scheduling: packAIdx:4, packBIdx:2 */
v_perm_b32 v[vgprValuA_X1_I0+4], v[vgprValuA_X1_I0_D1+1], v[vgprValuA_X1_I0_D0+1], s[sgprPackKForV0] // select K=01 for vector=0
v_perm_b32 v[vgprValuA_X1_I0+5], v[vgprValuA_X1_I0_D3+1], v[vgprValuA_X1_I0_D2+1], s[sgprPackKForV0] // select K=23 for vector=0
v_mfma_f32_16x16x16_f16 a[4+0:7+0], v[vgprValuB_X1_I0+0+0+0:vgprValuB_X1_I0+0+0+0+1], v[vgprValuA_X1_I0+2+0+0:vgprValuA_X1_I0+2+0+0+1], a[4:7]
/*  mfmaIndex:66  */
/* pack scheduling: packAIdx:6, packBIdx:2 */
v_perm_b32 v[vgprValuA_X1_I0+6], v[vgprValuA_X1_I0_D1+1], v[vgprValuA_X1_I0_D0+1], s[sgprPackKForV1] // select K=01 for vector=1
v_perm_b32 v[vgprValuA_X1_I0+7], v[vgprValuA_X1_I0_D3+1], v[vgprValuA_X1_I0_D2+1], s[sgprPackKForV1] // select K=23 for vector=1
v_mfma_f32_16x16x16_f16 a[8+0:11+0], v[vgprValuB_X1_I0+0+0+0:vgprValuB_X1_I0+0+0+0+1], v[vgprValuA_X1_I0+4+0+0:vgprValuA_X1_I0+4+0+0+1], a[8:11]
/*  mfmaIndex:67  */
/* pack scheduling: packAIdx:8, packBIdx:2 */
v_perm_b32 v[vgprValuA_X1_I0+8], v[vgprValuA_X1_I0_D1+2], v[vgprValuA_X1_I0_D0+2], s[sgprPackKForV0] // select K=01 for vector=0
v_perm_b32 v[vgprValuA_X1_I0+9], v[vgprValuA_X1_I0_D3+2], v[vgprValuA_X1_I0_D2+2], s[sgprPackKForV0] // select K=23 for vector=0
v_mfma_f32_16x16x16_f16 a[12+0:15+0], v[vgprValuB_X1_I0+0+0+0:vgprValuB_X1_I0+0+0+0+1], v[vgprValuA_X1_I0+6+0+0:vgprValuA_X1_I0+6+0+0+1], a[12:15]
/*  mfmaIndex:68  */
/* pack scheduling: packAIdx:10, packBIdx:2 */
	;; [unrolled: 10-line block ×3, first 2 shown]
v_perm_b32 v[vgprValuA_X1_I0+14], v[vgprValuA_X1_I0_D1+3], v[vgprValuA_X1_I0_D0+3], s[sgprPackKForV1] // select K=01 for vector=1
v_perm_b32 v[vgprValuA_X1_I0+15], v[vgprValuA_X1_I0_D3+3], v[vgprValuA_X1_I0_D2+3], s[sgprPackKForV1] // select K=23 for vector=1
v_mfma_f32_16x16x16_f16 a[24+0:27+0], v[vgprValuB_X1_I0+0+0+0:vgprValuB_X1_I0+0+0+0+1], v[vgprValuA_X1_I0+12+0+0:vgprValuA_X1_I0+12+0+0+1], a[24:27]
/*  mfmaIndex:71  */
/* pack scheduling: packAIdx:16, packBIdx:2 */
v_perm_b32 v[vgprValuB_X1_I0+2], v[vgprValuB_X1_I0_D1+0], v[vgprValuB_X1_I0_D0+0], s[sgprPackKForV1] // select K=01 for vector=1
v_perm_b32 v[vgprValuB_X1_I0+3], v[vgprValuB_X1_I0_D3+0], v[vgprValuB_X1_I0_D2+0], s[sgprPackKForV1] // select K=23 for vector=1
v_mfma_f32_16x16x16_f16 a[28+0:31+0], v[vgprValuB_X1_I0+0+0+0:vgprValuB_X1_I0+0+0+0+1], v[vgprValuA_X1_I0+14+0+0:vgprValuA_X1_I0+14+0+0+1], a[28:31]
/*  mfmaIndex:72  */
/* sched write - iter 1 writesPerItem=1 */
s_waitcnt vmcnt(0)                                 // lgkmcnt=-1 vmcnt=0wait for global read before writing to local
_ds_store_b128 v[vgprLocalWriteAddrA], v[vgprG2LA+4:vgprG2LA+4+3] offset:1024 // lwoA_0_0_1_0 = (0*LSCA) + (1*LSPA)(*MT0I+PAD) = 1024
/* pack scheduling: packAIdx:16, packBIdx:4 */
v_perm_b32 v[vgprValuB_X1_I0+4], v[vgprValuB_X1_I0_D1+1], v[vgprValuB_X1_I0_D0+1], s[sgprPackKForV0] // select K=01 for vector=0
v_perm_b32 v[vgprValuB_X1_I0+5], v[vgprValuB_X1_I0_D3+1], v[vgprValuB_X1_I0_D2+1], s[sgprPackKForV0] // select K=23 for vector=0
v_mfma_f32_16x16x16_f16 a[60+0:63+0], v[vgprValuB_X1_I0+2+0+0:vgprValuB_X1_I0+2+0+0+1], v[vgprValuA_X1_I0+14+0+0:vgprValuA_X1_I0+14+0+0+1], a[60:63]
/*  mfmaIndex:73  */
_buffer_load_b128 v[vgprG2LA+4:vgprG2LA+4+3], v[vgprGlobalReadOffsetA+0], s[sgprSrdA:sgprSrdA+3], s[sgprScalarGlobalReadOffsetA+0], offen offset:0 // G -> Reg 0_0_1_0
/* pack scheduling: packAIdx:16, packBIdx:4 */
v_perm_b32 v[vgprValuB_X1_I0+6], v[vgprValuB_X1_I0_D1+1], v[vgprValuB_X1_I0_D0+1], s[sgprPackKForV1] // select K=01 for vector=1
v_perm_b32 v[vgprValuB_X1_I0+7], v[vgprValuB_X1_I0_D3+1], v[vgprValuB_X1_I0_D2+1], s[sgprPackKForV1] // select K=23 for vector=1
v_mfma_f32_16x16x16_f16 a[56+0:59+0], v[vgprValuB_X1_I0+2+0+0:vgprValuB_X1_I0+2+0+0+1], v[vgprValuA_X1_I0+12+0+0:vgprValuA_X1_I0+12+0+0+1], a[56:59]
/*  mfmaIndex:74  */
/* pack scheduling: packAIdx:16, packBIdx:4 */
v_perm_b32 v[vgprValuB_X1_I0+8], v[vgprValuB_X1_I0_D1+2], v[vgprValuB_X1_I0_D0+2], s[sgprPackKForV0] // select K=01 for vector=0
v_perm_b32 v[vgprValuB_X1_I0+9], v[vgprValuB_X1_I0_D3+2], v[vgprValuB_X1_I0_D2+2], s[sgprPackKForV0] // select K=23 for vector=0
v_mfma_f32_16x16x16_f16 a[52+0:55+0], v[vgprValuB_X1_I0+2+0+0:vgprValuB_X1_I0+2+0+0+1], v[vgprValuA_X1_I0+10+0+0:vgprValuA_X1_I0+10+0+0+1], a[52:55]
/*  mfmaIndex:75  */
/* pack scheduling: packAIdx:16, packBIdx:4 */
v_perm_b32 v[vgprValuB_X1_I0+10], v[vgprValuB_X1_I0_D1+2], v[vgprValuB_X1_I0_D0+2], s[sgprPackKForV1] // select K=01 for vector=1
v_perm_b32 v[vgprValuB_X1_I0+11], v[vgprValuB_X1_I0_D3+2], v[vgprValuB_X1_I0_D2+2], s[sgprPackKForV1] // select K=23 for vector=1
v_mfma_f32_16x16x16_f16 a[48+0:51+0], v[vgprValuB_X1_I0+2+0+0:vgprValuB_X1_I0+2+0+0+1], v[vgprValuA_X1_I0+8+0+0:vgprValuA_X1_I0+8+0+0+1], a[48:51]
/*  mfmaIndex:76  */
/* pack scheduling: packAIdx:16, packBIdx:4 */
v_perm_b32 v[vgprValuB_X1_I0+12], v[vgprValuB_X1_I0_D1+3], v[vgprValuB_X1_I0_D0+3], s[sgprPackKForV0] // select K=01 for vector=0
v_perm_b32 v[vgprValuB_X1_I0+13], v[vgprValuB_X1_I0_D3+3], v[vgprValuB_X1_I0_D2+3], s[sgprPackKForV0] // select K=23 for vector=0
v_mfma_f32_16x16x16_f16 a[44+0:47+0], v[vgprValuB_X1_I0+2+0+0:vgprValuB_X1_I0+2+0+0+1], v[vgprValuA_X1_I0+6+0+0:vgprValuA_X1_I0+6+0+0+1], a[44:47]
/*  mfmaIndex:77  */
/* pack scheduling: packAIdx:16, packBIdx:4 */
v_perm_b32 v[vgprValuB_X1_I0+14], v[vgprValuB_X1_I0_D1+3], v[vgprValuB_X1_I0_D0+3], s[sgprPackKForV1] // select K=01 for vector=1
v_perm_b32 v[vgprValuB_X1_I0+15], v[vgprValuB_X1_I0_D3+3], v[vgprValuB_X1_I0_D2+3], s[sgprPackKForV1] // select K=23 for vector=1
v_mfma_f32_16x16x16_f16 a[40+0:43+0], v[vgprValuB_X1_I0+2+0+0:vgprValuB_X1_I0+2+0+0+1], v[vgprValuA_X1_I0+4+0+0:vgprValuA_X1_I0+4+0+0+1], a[40:43]
/*  mfmaIndex:78  */
v_mfma_f32_16x16x16_f16 a[36+0:39+0], v[vgprValuB_X1_I0+2+0+0:vgprValuB_X1_I0+2+0+0+1], v[vgprValuA_X1_I0+2+0+0:vgprValuA_X1_I0+2+0+0+1], a[36:39]
/*  mfmaIndex:79  */
	;; [unrolled: 2-line block ×6, first 2 shown]
/* sched write - iter 1 writesPerItem=1 */
s_waitcnt vmcnt(0)                                 // lgkmcnt=-1 vmcnt=0wait for global read before writing to local
_ds_store_b128 v[vgprLocalWriteAddrA], v[vgprG2LA+8:vgprG2LA+8+3] offset:2048 // lwoA_0_0_2_0 = (0*LSCA) + (2*LSPA)(*MT0I+PAD) = 2048
v_mfma_f32_16x16x16_f16 a[76+0:79+0], v[vgprValuB_X1_I0+4+0+0:vgprValuB_X1_I0+4+0+0+1], v[vgprValuA_X1_I0+6+0+0:vgprValuA_X1_I0+6+0+0+1], a[76:79]
/*  mfmaIndex:84  */
_buffer_load_b128 v[vgprG2LA+8:vgprG2LA+8+3], v[vgprGlobalReadOffsetA+0], s[sgprSrdA:sgprSrdA+3], s[sgprScalarGlobalReadOffsetA+1], offen offset:0 // G -> Reg 0_0_2_0
v_mfma_f32_16x16x16_f16 a[80+0:83+0], v[vgprValuB_X1_I0+4+0+0:vgprValuB_X1_I0+4+0+0+1], v[vgprValuA_X1_I0+8+0+0:vgprValuA_X1_I0+8+0+0+1], a[80:83]
/*  mfmaIndex:85  */
v_mfma_f32_16x16x16_f16 a[84+0:87+0], v[vgprValuB_X1_I0+4+0+0:vgprValuB_X1_I0+4+0+0+1], v[vgprValuA_X1_I0+10+0+0:vgprValuA_X1_I0+10+0+0+1], a[84:87]
/*  mfmaIndex:86  */
	;; [unrolled: 2-line block ×10, first 2 shown]
/* sched write - iter 1 writesPerItem=1 */
s_waitcnt vmcnt(0)                                 // lgkmcnt=-1 vmcnt=0wait for global read before writing to local
_ds_store_b128 v[vgprLocalWriteAddrA], v[vgprG2LA+12:vgprG2LA+12+3] offset:3072 // lwoA_0_0_3_0 = (0*LSCA) + (3*LSPA)(*MT0I+PAD) = 3072
v_mfma_f32_16x16x16_f16 a[100+0:103+0], v[vgprValuB_X1_I0+6+0+0:vgprValuB_X1_I0+6+0+0+1], v[vgprValuA_X1_I0+2+0+0:vgprValuA_X1_I0+2+0+0+1], a[100:103]
/*  mfmaIndex:95  */
_buffer_load_b128 v[vgprG2LA+12:vgprG2LA+12+3], v[vgprGlobalReadOffsetA+0], s[sgprSrdA:sgprSrdA+3], s[sgprScalarGlobalReadOffsetA+2], offen offset:0 // G -> Reg 0_0_3_0
v_mfma_f32_16x16x16_f16 a[96+0:99+0], v[vgprValuB_X1_I0+6+0+0:vgprValuB_X1_I0+6+0+0+1], v[vgprValuA_X1_I0+0+0+0:vgprValuA_X1_I0+0+0+0+1], a[96:99]
/*  mfmaIndex:96  */
v_mfma_f32_16x16x16_f16 a[128+0:131+0], v[vgprValuB_X1_I0+8+0+0:vgprValuB_X1_I0+8+0+0+1], v[vgprValuA_X1_I0+0+0+0:vgprValuA_X1_I0+0+0+0+1], a[128:131]
/*  mfmaIndex:97  */
	;; [unrolled: 2-line block ×10, first 2 shown]
/* sched write - iter 1 writesPerItem=1 */
s_waitcnt vmcnt(0)                                 // lgkmcnt=-1 vmcnt=0wait for global read before writing to local
_ds_store_b128 v[vgprLocalWriteAddrA], v[vgprG2LA+16:vgprG2LA+16+3] offset:4096 // lwoA_0_0_4_0 = (0*LSCA) + (4*LSPA)(*MT0I+PAD) = 4096
v_mfma_f32_16x16x16_f16 a[184+0:187+0], v[vgprValuB_X1_I0+10+0+0:vgprValuB_X1_I0+10+0+0+1], v[vgprValuA_X1_I0+12+0+0:vgprValuA_X1_I0+12+0+0+1], a[184:187]
/*  mfmaIndex:106  */
_buffer_load_b128 v[vgprG2LA+16:vgprG2LA+16+3], v[vgprGlobalReadOffsetA+0], s[sgprSrdA:sgprSrdA+3], s[sgprScalarGlobalReadOffsetA+3], offen offset:0 // G -> Reg 0_0_4_0
v_mfma_f32_16x16x16_f16 a[180+0:183+0], v[vgprValuB_X1_I0+10+0+0:vgprValuB_X1_I0+10+0+0+1], v[vgprValuA_X1_I0+10+0+0:vgprValuA_X1_I0+10+0+0+1], a[180:183]
/*  mfmaIndex:107  */
v_mfma_f32_16x16x16_f16 a[176+0:179+0], v[vgprValuB_X1_I0+10+0+0:vgprValuB_X1_I0+10+0+0+1], v[vgprValuA_X1_I0+8+0+0:vgprValuA_X1_I0+8+0+0+1], a[176:179]
/*  mfmaIndex:108  */
	;; [unrolled: 2-line block ×10, first 2 shown]
/* sched write - iter 1 writesPerItem=1 */
s_waitcnt vmcnt(0)                                 // lgkmcnt=-1 vmcnt=0wait for global read before writing to local
_ds_store_b128 v[vgprLocalWriteAddrA], v[vgprG2LA+20:vgprG2LA+20+3] offset:5120 // lwoA_0_0_5_0 = (0*LSCA) + (5*LSPA)(*MT0I+PAD) = 5120
v_mfma_f32_16x16x16_f16 a[208+0:211+0], v[vgprValuB_X1_I0+12+0+0:vgprValuB_X1_I0+12+0+0+1], v[vgprValuA_X1_I0+8+0+0:vgprValuA_X1_I0+8+0+0+1], a[208:211]
/*  mfmaIndex:117  */
_buffer_load_b128 v[vgprG2LA+20:vgprG2LA+20+3], v[vgprGlobalReadOffsetA+0], s[sgprSrdA:sgprSrdA+3], s[sgprScalarGlobalReadOffsetA+4], offen offset:0 // G -> Reg 0_0_5_0
v_mfma_f32_16x16x16_f16 a[212+0:215+0], v[vgprValuB_X1_I0+12+0+0:vgprValuB_X1_I0+12+0+0+1], v[vgprValuA_X1_I0+10+0+0:vgprValuA_X1_I0+10+0+0+1], a[212:215]
/*  mfmaIndex:118  */
v_mfma_f32_16x16x16_f16 a[216+0:219+0], v[vgprValuB_X1_I0+12+0+0:vgprValuB_X1_I0+12+0+0+1], v[vgprValuA_X1_I0+12+0+0:vgprValuA_X1_I0+12+0+0+1], a[216:219]
/*  mfmaIndex:119  */
	;; [unrolled: 2-line block ×10, first 2 shown]
/* sched write - iter 1 writesPerItem=1 */
s_waitcnt vmcnt(0)                                 // lgkmcnt=-1 vmcnt=0wait for global read before writing to local
_ds_store_b128 v[vgprLocalWriteAddrA], v[vgprG2LA+24:vgprG2LA+24+3] offset:6144 // lwoA_0_0_6_0 = (0*LSCA) + (6*LSPA)(*MT0I+PAD) = 6144
v_mfma_f32_16x16x16_f16 a[224+0:227+0], v[vgprValuB_X1_I0+14+0+0:vgprValuB_X1_I0+14+0+0+1], v[vgprValuA_X1_I0+0+0+0:vgprValuA_X1_I0+0+0+0+1], a[224:227]


/* iter 2 (reset local read pointers iteration)  (swap local read pointers iteration)  */

/*  grEndMfmaIndex:12, lwStartMfmaIndex:61, lwEndMfmaIndex:228  */
/*  numMfmaForLR:22, barrierMfmaIndex:233, LocalWritePerMfma:0.090 */
/*  mfmaIndex:128  */
_buffer_load_b128 v[vgprG2LA+24:vgprG2LA+24+3], v[vgprGlobalReadOffsetA+0], s[sgprSrdA:sgprSrdA+3], s[sgprScalarGlobalReadOffsetA+5], offen offset:0 // G -> Reg 0_0_6_0
/* pack scheduling: packAIdx:2, packBIdx:2 */
v_perm_b32 v[vgprValuA_X2_I0+0], v[vgprValuA_X2_I0_D1+0], v[vgprValuA_X2_I0_D0+0], s[sgprPackKForV0] // select K=01 for vector=0
v_perm_b32 v[vgprValuA_X2_I0+1], v[vgprValuA_X2_I0_D3+0], v[vgprValuA_X2_I0_D2+0], s[sgprPackKForV0] // select K=23 for vector=0
v_perm_b32 v[vgprValuB_X2_I0+0], v[vgprValuB_X2_I0_D1+0], v[vgprValuB_X2_I0_D0+0], s[sgprPackKForV0] // select K=01 for vector=0
v_perm_b32 v[vgprValuB_X2_I0+1], v[vgprValuB_X2_I0_D3+0], v[vgprValuB_X2_I0_D2+0], s[sgprPackKForV0] // select K=23 for vector=0
v_perm_b32 v[vgprValuA_X2_I0+2], v[vgprValuA_X2_I0_D1+0], v[vgprValuA_X2_I0_D0+0], s[sgprPackKForV1] // select K=01 for vector=1
v_perm_b32 v[vgprValuA_X2_I0+3], v[vgprValuA_X2_I0_D3+0], v[vgprValuA_X2_I0_D2+0], s[sgprPackKForV1] // select K=23 for vector=1
v_mfma_f32_16x16x16_f16 a[0+0:3+0], v[vgprValuB_X2_I0+0+0+0:vgprValuB_X2_I0+0+0+0+1], v[vgprValuA_X2_I0+0+0+0:vgprValuA_X2_I0+0+0+0+1], a[0:3]
/*  mfmaIndex:129  */
/* pack scheduling: packAIdx:4, packBIdx:2 */
v_perm_b32 v[vgprValuA_X2_I0+4], v[vgprValuA_X2_I0_D1+1], v[vgprValuA_X2_I0_D0+1], s[sgprPackKForV0] // select K=01 for vector=0
v_perm_b32 v[vgprValuA_X2_I0+5], v[vgprValuA_X2_I0_D3+1], v[vgprValuA_X2_I0_D2+1], s[sgprPackKForV0] // select K=23 for vector=0
v_mfma_f32_16x16x16_f16 a[4+0:7+0], v[vgprValuB_X2_I0+0+0+0:vgprValuB_X2_I0+0+0+0+1], v[vgprValuA_X2_I0+2+0+0:vgprValuA_X2_I0+2+0+0+1], a[4:7]
/*  mfmaIndex:130  */
/* pack scheduling: packAIdx:6, packBIdx:2 */
v_perm_b32 v[vgprValuA_X2_I0+6], v[vgprValuA_X2_I0_D1+1], v[vgprValuA_X2_I0_D0+1], s[sgprPackKForV1] // select K=01 for vector=1
v_perm_b32 v[vgprValuA_X2_I0+7], v[vgprValuA_X2_I0_D3+1], v[vgprValuA_X2_I0_D2+1], s[sgprPackKForV1] // select K=23 for vector=1
v_mfma_f32_16x16x16_f16 a[8+0:11+0], v[vgprValuB_X2_I0+0+0+0:vgprValuB_X2_I0+0+0+0+1], v[vgprValuA_X2_I0+4+0+0:vgprValuA_X2_I0+4+0+0+1], a[8:11]
/*  mfmaIndex:131  */
/* pack scheduling: packAIdx:8, packBIdx:2 */
v_perm_b32 v[vgprValuA_X2_I0+8], v[vgprValuA_X2_I0_D1+2], v[vgprValuA_X2_I0_D0+2], s[sgprPackKForV0] // select K=01 for vector=0
v_perm_b32 v[vgprValuA_X2_I0+9], v[vgprValuA_X2_I0_D3+2], v[vgprValuA_X2_I0_D2+2], s[sgprPackKForV0] // select K=23 for vector=0
v_mfma_f32_16x16x16_f16 a[12+0:15+0], v[vgprValuB_X2_I0+0+0+0:vgprValuB_X2_I0+0+0+0+1], v[vgprValuA_X2_I0+6+0+0:vgprValuA_X2_I0+6+0+0+1], a[12:15]
/*  mfmaIndex:132  */
/* pack scheduling: packAIdx:10, packBIdx:2 */
	;; [unrolled: 10-line block ×3, first 2 shown]
v_perm_b32 v[vgprValuA_X2_I0+14], v[vgprValuA_X2_I0_D1+3], v[vgprValuA_X2_I0_D0+3], s[sgprPackKForV1] // select K=01 for vector=1
v_perm_b32 v[vgprValuA_X2_I0+15], v[vgprValuA_X2_I0_D3+3], v[vgprValuA_X2_I0_D2+3], s[sgprPackKForV1] // select K=23 for vector=1
v_mfma_f32_16x16x16_f16 a[24+0:27+0], v[vgprValuB_X2_I0+0+0+0:vgprValuB_X2_I0+0+0+0+1], v[vgprValuA_X2_I0+12+0+0:vgprValuA_X2_I0+12+0+0+1], a[24:27]
/*  mfmaIndex:135  */
/* pack scheduling: packAIdx:16, packBIdx:2 */
v_perm_b32 v[vgprValuB_X2_I0+2], v[vgprValuB_X2_I0_D1+0], v[vgprValuB_X2_I0_D0+0], s[sgprPackKForV1] // select K=01 for vector=1
v_perm_b32 v[vgprValuB_X2_I0+3], v[vgprValuB_X2_I0_D3+0], v[vgprValuB_X2_I0_D2+0], s[sgprPackKForV1] // select K=23 for vector=1
v_mfma_f32_16x16x16_f16 a[28+0:31+0], v[vgprValuB_X2_I0+0+0+0:vgprValuB_X2_I0+0+0+0+1], v[vgprValuA_X2_I0+14+0+0:vgprValuA_X2_I0+14+0+0+1], a[28:31]
/*  mfmaIndex:136  */
/* pack scheduling: packAIdx:16, packBIdx:4 */
v_perm_b32 v[vgprValuB_X2_I0+4], v[vgprValuB_X2_I0_D1+1], v[vgprValuB_X2_I0_D0+1], s[sgprPackKForV0] // select K=01 for vector=0
v_perm_b32 v[vgprValuB_X2_I0+5], v[vgprValuB_X2_I0_D3+1], v[vgprValuB_X2_I0_D2+1], s[sgprPackKForV0] // select K=23 for vector=0
v_mfma_f32_16x16x16_f16 a[60+0:63+0], v[vgprValuB_X2_I0+2+0+0:vgprValuB_X2_I0+2+0+0+1], v[vgprValuA_X2_I0+14+0+0:vgprValuA_X2_I0+14+0+0+1], a[60:63]
/*  mfmaIndex:137  */
/* pack scheduling: packAIdx:16, packBIdx:4 */
v_perm_b32 v[vgprValuB_X2_I0+6], v[vgprValuB_X2_I0_D1+1], v[vgprValuB_X2_I0_D0+1], s[sgprPackKForV1] // select K=01 for vector=1
v_perm_b32 v[vgprValuB_X2_I0+7], v[vgprValuB_X2_I0_D3+1], v[vgprValuB_X2_I0_D2+1], s[sgprPackKForV1] // select K=23 for vector=1
v_mfma_f32_16x16x16_f16 a[56+0:59+0], v[vgprValuB_X2_I0+2+0+0:vgprValuB_X2_I0+2+0+0+1], v[vgprValuA_X2_I0+12+0+0:vgprValuA_X2_I0+12+0+0+1], a[56:59]
/*  mfmaIndex:138  */
/* sched write - iter 2 writesPerItem=1 */
s_waitcnt vmcnt(0)                                 // lgkmcnt=-1 vmcnt=0wait for global read before writing to local
_ds_store_b128 v[vgprLocalWriteAddrA], v[vgprG2LA+28:vgprG2LA+28+3] offset:7168 // lwoA_0_0_7_0 = (0*LSCA) + (7*LSPA)(*MT0I+PAD) = 7168
/* pack scheduling: packAIdx:16, packBIdx:4 */
v_perm_b32 v[vgprValuB_X2_I0+8], v[vgprValuB_X2_I0_D1+2], v[vgprValuB_X2_I0_D0+2], s[sgprPackKForV0] // select K=01 for vector=0
v_perm_b32 v[vgprValuB_X2_I0+9], v[vgprValuB_X2_I0_D3+2], v[vgprValuB_X2_I0_D2+2], s[sgprPackKForV0] // select K=23 for vector=0
v_mfma_f32_16x16x16_f16 a[52+0:55+0], v[vgprValuB_X2_I0+2+0+0:vgprValuB_X2_I0+2+0+0+1], v[vgprValuA_X2_I0+10+0+0:vgprValuA_X2_I0+10+0+0+1], a[52:55]
/*  mfmaIndex:139  */
_buffer_load_b128 v[vgprG2LA+28:vgprG2LA+28+3], v[vgprGlobalReadOffsetA+0], s[sgprSrdA:sgprSrdA+3], s[sgprScalarGlobalReadOffsetA+6], offen offset:0 // G -> Reg 0_0_7_0
/* pack scheduling: packAIdx:16, packBIdx:4 */
v_perm_b32 v[vgprValuB_X2_I0+10], v[vgprValuB_X2_I0_D1+2], v[vgprValuB_X2_I0_D0+2], s[sgprPackKForV1] // select K=01 for vector=1
v_perm_b32 v[vgprValuB_X2_I0+11], v[vgprValuB_X2_I0_D3+2], v[vgprValuB_X2_I0_D2+2], s[sgprPackKForV1] // select K=23 for vector=1
v_mfma_f32_16x16x16_f16 a[48+0:51+0], v[vgprValuB_X2_I0+2+0+0:vgprValuB_X2_I0+2+0+0+1], v[vgprValuA_X2_I0+8+0+0:vgprValuA_X2_I0+8+0+0+1], a[48:51]
/*  mfmaIndex:140  */
/* pack scheduling: packAIdx:16, packBIdx:4 */
v_perm_b32 v[vgprValuB_X2_I0+12], v[vgprValuB_X2_I0_D1+3], v[vgprValuB_X2_I0_D0+3], s[sgprPackKForV0] // select K=01 for vector=0
v_perm_b32 v[vgprValuB_X2_I0+13], v[vgprValuB_X2_I0_D3+3], v[vgprValuB_X2_I0_D2+3], s[sgprPackKForV0] // select K=23 for vector=0
v_mfma_f32_16x16x16_f16 a[44+0:47+0], v[vgprValuB_X2_I0+2+0+0:vgprValuB_X2_I0+2+0+0+1], v[vgprValuA_X2_I0+6+0+0:vgprValuA_X2_I0+6+0+0+1], a[44:47]
/*  mfmaIndex:141  */
/* pack scheduling: packAIdx:16, packBIdx:4 */
v_perm_b32 v[vgprValuB_X2_I0+14], v[vgprValuB_X2_I0_D1+3], v[vgprValuB_X2_I0_D0+3], s[sgprPackKForV1] // select K=01 for vector=1
v_perm_b32 v[vgprValuB_X2_I0+15], v[vgprValuB_X2_I0_D3+3], v[vgprValuB_X2_I0_D2+3], s[sgprPackKForV1] // select K=23 for vector=1
v_mfma_f32_16x16x16_f16 a[40+0:43+0], v[vgprValuB_X2_I0+2+0+0:vgprValuB_X2_I0+2+0+0+1], v[vgprValuA_X2_I0+4+0+0:vgprValuA_X2_I0+4+0+0+1], a[40:43]
/*  mfmaIndex:142  */
v_mfma_f32_16x16x16_f16 a[36+0:39+0], v[vgprValuB_X2_I0+2+0+0:vgprValuB_X2_I0+2+0+0+1], v[vgprValuA_X2_I0+2+0+0:vgprValuA_X2_I0+2+0+0+1], a[36:39]
/*  mfmaIndex:143  */
	;; [unrolled: 2-line block ×8, first 2 shown]
/* sched write - iter 2 writesPerItem=1 */
s_waitcnt vmcnt(0)                                 // lgkmcnt=-1 vmcnt=0wait for global read before writing to local
_ds_store_b128 v[vgprLocalWriteAddrB], v[vgprG2LB+0:vgprG2LB+0+3] offset:0 // lwoB_0_0_0_0 = (0*LSCB) + (0*LSPB)(*MT1J+PAD) = 0
v_mfma_f32_16x16x16_f16 a[84+0:87+0], v[vgprValuB_X2_I0+4+0+0:vgprValuB_X2_I0+4+0+0+1], v[vgprValuA_X2_I0+10+0+0:vgprValuA_X2_I0+10+0+0+1], a[84:87]
/*  mfmaIndex:150  */
_buffer_load_b128 v[vgprG2LB+0:vgprG2LB+0+3], v[vgprGlobalReadOffsetB+0], s[sgprSrdB:sgprSrdB+3], 0, offen offset:0 // G -> Reg 0_0_0_0
v_mfma_f32_16x16x16_f16 a[88+0:91+0], v[vgprValuB_X2_I0+4+0+0:vgprValuB_X2_I0+4+0+0+1], v[vgprValuA_X2_I0+12+0+0:vgprValuA_X2_I0+12+0+0+1], a[88:91]
/*  mfmaIndex:151  */
v_mfma_f32_16x16x16_f16 a[92+0:95+0], v[vgprValuB_X2_I0+4+0+0:vgprValuB_X2_I0+4+0+0+1], v[vgprValuA_X2_I0+14+0+0:vgprValuA_X2_I0+14+0+0+1], a[92:95]
/*  mfmaIndex:152  */
	;; [unrolled: 2-line block ×11, first 2 shown]
/* sched write - iter 2 writesPerItem=1 */
s_waitcnt vmcnt(0)                                 // lgkmcnt=-1 vmcnt=0wait for global read before writing to local
_ds_store_b128 v[vgprLocalWriteAddrB], v[vgprG2LB+4:vgprG2LB+4+3] offset:1024 // lwoB_0_0_1_0 = (0*LSCB) + (1*LSPB)(*MT1J+PAD) = 1024
v_mfma_f32_16x16x16_f16 a[132+0:135+0], v[vgprValuB_X2_I0+8+0+0:vgprValuB_X2_I0+8+0+0+1], v[vgprValuA_X2_I0+2+0+0:vgprValuA_X2_I0+2+0+0+1], a[132:135]
/*  mfmaIndex:162  */
_buffer_load_b128 v[vgprG2LB+4:vgprG2LB+4+3], v[vgprGlobalReadOffsetB+0], s[sgprSrdB:sgprSrdB+3], s[sgprScalarGlobalReadOffsetB+0], offen offset:0 // G -> Reg 0_0_1_0
v_mfma_f32_16x16x16_f16 a[136+0:139+0], v[vgprValuB_X2_I0+8+0+0:vgprValuB_X2_I0+8+0+0+1], v[vgprValuA_X2_I0+4+0+0:vgprValuA_X2_I0+4+0+0+1], a[136:139]
/*  mfmaIndex:163  */
v_mfma_f32_16x16x16_f16 a[140+0:143+0], v[vgprValuB_X2_I0+8+0+0:vgprValuB_X2_I0+8+0+0+1], v[vgprValuA_X2_I0+6+0+0:vgprValuA_X2_I0+6+0+0+1], a[140:143]
/*  mfmaIndex:164  */
	;; [unrolled: 2-line block ×10, first 2 shown]
/* sched write - iter 2 writesPerItem=1 */
s_waitcnt vmcnt(0)                                 // lgkmcnt=-1 vmcnt=0wait for global read before writing to local
_ds_store_b128 v[vgprLocalWriteAddrB], v[vgprG2LB+8:vgprG2LB+8+3] offset:2048 // lwoB_0_0_2_0 = (0*LSCB) + (2*LSPB)(*MT1J+PAD) = 2048
v_mfma_f32_16x16x16_f16 a[172+0:175+0], v[vgprValuB_X2_I0+10+0+0:vgprValuB_X2_I0+10+0+0+1], v[vgprValuA_X2_I0+6+0+0:vgprValuA_X2_I0+6+0+0+1], a[172:175]
/*  mfmaIndex:173  */
_buffer_load_b128 v[vgprG2LB+8:vgprG2LB+8+3], v[vgprGlobalReadOffsetB+0], s[sgprSrdB:sgprSrdB+3], s[sgprScalarGlobalReadOffsetB+1], offen offset:0 // G -> Reg 0_0_2_0
v_mfma_f32_16x16x16_f16 a[168+0:171+0], v[vgprValuB_X2_I0+10+0+0:vgprValuB_X2_I0+10+0+0+1], v[vgprValuA_X2_I0+4+0+0:vgprValuA_X2_I0+4+0+0+1], a[168:171]
/*  mfmaIndex:174  */
v_mfma_f32_16x16x16_f16 a[164+0:167+0], v[vgprValuB_X2_I0+10+0+0:vgprValuB_X2_I0+10+0+0+1], v[vgprValuA_X2_I0+2+0+0:vgprValuA_X2_I0+2+0+0+1], a[164:167]
/*  mfmaIndex:175  */
	;; [unrolled: 2-line block ×10, first 2 shown]
/* sched write - iter 2 writesPerItem=1 */
s_waitcnt vmcnt(0)                                 // lgkmcnt=-1 vmcnt=0wait for global read before writing to local
_ds_store_b128 v[vgprLocalWriteAddrB], v[vgprG2LB+12:vgprG2LB+12+3] offset:3072 // lwoB_0_0_3_0 = (0*LSCB) + (3*LSPB)(*MT1J+PAD) = 3072
v_mfma_f32_16x16x16_f16 a[220+0:223+0], v[vgprValuB_X2_I0+12+0+0:vgprValuB_X2_I0+12+0+0+1], v[vgprValuA_X2_I0+14+0+0:vgprValuA_X2_I0+14+0+0+1], a[220:223]
/*  mfmaIndex:184  */
_buffer_load_b128 v[vgprG2LB+12:vgprG2LB+12+3], v[vgprGlobalReadOffsetB+0], s[sgprSrdB:sgprSrdB+3], s[sgprScalarGlobalReadOffsetB+2], offen offset:0 // G -> Reg 0_0_3_0
v_mfma_f32_16x16x16_f16 a[252+0:255+0], v[vgprValuB_X2_I0+14+0+0:vgprValuB_X2_I0+14+0+0+1], v[vgprValuA_X2_I0+14+0+0:vgprValuA_X2_I0+14+0+0+1], a[252:255]
/*  mfmaIndex:185  */
v_mfma_f32_16x16x16_f16 a[248+0:251+0], v[vgprValuB_X2_I0+14+0+0:vgprValuB_X2_I0+14+0+0+1], v[vgprValuA_X2_I0+12+0+0:vgprValuA_X2_I0+12+0+0+1], a[248:251]
/*  mfmaIndex:186  */
	;; [unrolled: 2-line block ×7, first 2 shown]

/* local read swap offsets a */

/* local read swap offsets b */

/* local read init pointers a */

/* localReadInitPointers */

/* local read init pointers b */

/* localReadInitPointers */
v_mfma_f32_16x16x16_f16 a[224+0:227+0], v[vgprValuB_X2_I0+14+0+0:vgprValuB_X2_I0+14+0+0+1], v[vgprValuA_X2_I0+0+0+0:vgprValuA_X2_I0+0+0+0+1], a[224:227]


/* iter 3 (swap and reset local write pointers iteration)  */

/*  grEndMfmaIndex:12, lwStartMfmaIndex:61, lwEndMfmaIndex:228  */
/*  numMfmaForLR:22, barrierMfmaIndex:233, LocalWritePerMfma:0.090 */
/*  mfmaIndex:192  */
/* pack scheduling: packAIdx:2, packBIdx:2 */
v_perm_b32 v[vgprValuA_X3_I0+0], v[vgprValuA_X3_I0_D1+0], v[vgprValuA_X3_I0_D0+0], s[sgprPackKForV0] // select K=01 for vector=0
v_perm_b32 v[vgprValuA_X3_I0+1], v[vgprValuA_X3_I0_D3+0], v[vgprValuA_X3_I0_D2+0], s[sgprPackKForV0] // select K=23 for vector=0
v_perm_b32 v[vgprValuB_X3_I0+0], v[vgprValuB_X3_I0_D1+0], v[vgprValuB_X3_I0_D0+0], s[sgprPackKForV0] // select K=01 for vector=0
v_perm_b32 v[vgprValuB_X3_I0+1], v[vgprValuB_X3_I0_D3+0], v[vgprValuB_X3_I0_D2+0], s[sgprPackKForV0] // select K=23 for vector=0
v_perm_b32 v[vgprValuA_X3_I0+2], v[vgprValuA_X3_I0_D1+0], v[vgprValuA_X3_I0_D0+0], s[sgprPackKForV1] // select K=01 for vector=1
v_perm_b32 v[vgprValuA_X3_I0+3], v[vgprValuA_X3_I0_D3+0], v[vgprValuA_X3_I0_D2+0], s[sgprPackKForV1] // select K=23 for vector=1
v_mfma_f32_16x16x16_f16 a[0+0:3+0], v[vgprValuB_X3_I0+0+0+0:vgprValuB_X3_I0+0+0+0+1], v[vgprValuA_X3_I0+0+0+0:vgprValuA_X3_I0+0+0+0+1], a[0:3]
/*  mfmaIndex:193  */
/* pack scheduling: packAIdx:4, packBIdx:2 */
v_perm_b32 v[vgprValuA_X3_I0+4], v[vgprValuA_X3_I0_D1+1], v[vgprValuA_X3_I0_D0+1], s[sgprPackKForV0] // select K=01 for vector=0
v_perm_b32 v[vgprValuA_X3_I0+5], v[vgprValuA_X3_I0_D3+1], v[vgprValuA_X3_I0_D2+1], s[sgprPackKForV0] // select K=23 for vector=0
v_mfma_f32_16x16x16_f16 a[4+0:7+0], v[vgprValuB_X3_I0+0+0+0:vgprValuB_X3_I0+0+0+0+1], v[vgprValuA_X3_I0+2+0+0:vgprValuA_X3_I0+2+0+0+1], a[4:7]
/*  mfmaIndex:194  */
/* sched write - iter 3 writesPerItem=1 */
s_waitcnt vmcnt(0)                                 // lgkmcnt=-1 vmcnt=0wait for global read before writing to local
_ds_store_b128 v[vgprLocalWriteAddrB], v[vgprG2LB+16:vgprG2LB+16+3] offset:4096 // lwoB_0_0_4_0 = (0*LSCB) + (4*LSPB)(*MT1J+PAD) = 4096
/* pack scheduling: packAIdx:6, packBIdx:2 */
v_perm_b32 v[vgprValuA_X3_I0+6], v[vgprValuA_X3_I0_D1+1], v[vgprValuA_X3_I0_D0+1], s[sgprPackKForV1] // select K=01 for vector=1
v_perm_b32 v[vgprValuA_X3_I0+7], v[vgprValuA_X3_I0_D3+1], v[vgprValuA_X3_I0_D2+1], s[sgprPackKForV1] // select K=23 for vector=1
v_mfma_f32_16x16x16_f16 a[8+0:11+0], v[vgprValuB_X3_I0+0+0+0:vgprValuB_X3_I0+0+0+0+1], v[vgprValuA_X3_I0+4+0+0:vgprValuA_X3_I0+4+0+0+1], a[8:11]
/*  mfmaIndex:195  */
_buffer_load_b128 v[vgprG2LB+16:vgprG2LB+16+3], v[vgprGlobalReadOffsetB+0], s[sgprSrdB:sgprSrdB+3], s[sgprScalarGlobalReadOffsetB+3], offen offset:0 // G -> Reg 0_0_4_0
/* pack scheduling: packAIdx:8, packBIdx:2 */
v_perm_b32 v[vgprValuA_X3_I0+8], v[vgprValuA_X3_I0_D1+2], v[vgprValuA_X3_I0_D0+2], s[sgprPackKForV0] // select K=01 for vector=0
v_perm_b32 v[vgprValuA_X3_I0+9], v[vgprValuA_X3_I0_D3+2], v[vgprValuA_X3_I0_D2+2], s[sgprPackKForV0] // select K=23 for vector=0
v_mfma_f32_16x16x16_f16 a[12+0:15+0], v[vgprValuB_X3_I0+0+0+0:vgprValuB_X3_I0+0+0+0+1], v[vgprValuA_X3_I0+6+0+0:vgprValuA_X3_I0+6+0+0+1], a[12:15]
/*  mfmaIndex:196  */
/* pack scheduling: packAIdx:10, packBIdx:2 */
v_perm_b32 v[vgprValuA_X3_I0+10], v[vgprValuA_X3_I0_D1+2], v[vgprValuA_X3_I0_D0+2], s[sgprPackKForV1] // select K=01 for vector=1
v_perm_b32 v[vgprValuA_X3_I0+11], v[vgprValuA_X3_I0_D3+2], v[vgprValuA_X3_I0_D2+2], s[sgprPackKForV1] // select K=23 for vector=1
v_mfma_f32_16x16x16_f16 a[16+0:19+0], v[vgprValuB_X3_I0+0+0+0:vgprValuB_X3_I0+0+0+0+1], v[vgprValuA_X3_I0+8+0+0:vgprValuA_X3_I0+8+0+0+1], a[16:19]
/*  mfmaIndex:197  */
/* pack scheduling: packAIdx:12, packBIdx:2 */
v_perm_b32 v[vgprValuA_X3_I0+12], v[vgprValuA_X3_I0_D1+3], v[vgprValuA_X3_I0_D0+3], s[sgprPackKForV0] // select K=01 for vector=0
v_perm_b32 v[vgprValuA_X3_I0+13], v[vgprValuA_X3_I0_D3+3], v[vgprValuA_X3_I0_D2+3], s[sgprPackKForV0] // select K=23 for vector=0
v_mfma_f32_16x16x16_f16 a[20+0:23+0], v[vgprValuB_X3_I0+0+0+0:vgprValuB_X3_I0+0+0+0+1], v[vgprValuA_X3_I0+10+0+0:vgprValuA_X3_I0+10+0+0+1], a[20:23]
/*  mfmaIndex:198  */
/* pack scheduling: packAIdx:14, packBIdx:2 */
v_perm_b32 v[vgprValuA_X3_I0+14], v[vgprValuA_X3_I0_D1+3], v[vgprValuA_X3_I0_D0+3], s[sgprPackKForV1] // select K=01 for vector=1
v_perm_b32 v[vgprValuA_X3_I0+15], v[vgprValuA_X3_I0_D3+3], v[vgprValuA_X3_I0_D2+3], s[sgprPackKForV1] // select K=23 for vector=1
v_mfma_f32_16x16x16_f16 a[24+0:27+0], v[vgprValuB_X3_I0+0+0+0:vgprValuB_X3_I0+0+0+0+1], v[vgprValuA_X3_I0+12+0+0:vgprValuA_X3_I0+12+0+0+1], a[24:27]
/*  mfmaIndex:199  */
/* pack scheduling: packAIdx:16, packBIdx:2 */
v_perm_b32 v[vgprValuB_X3_I0+2], v[vgprValuB_X3_I0_D1+0], v[vgprValuB_X3_I0_D0+0], s[sgprPackKForV1] // select K=01 for vector=1
v_perm_b32 v[vgprValuB_X3_I0+3], v[vgprValuB_X3_I0_D3+0], v[vgprValuB_X3_I0_D2+0], s[sgprPackKForV1] // select K=23 for vector=1
v_mfma_f32_16x16x16_f16 a[28+0:31+0], v[vgprValuB_X3_I0+0+0+0:vgprValuB_X3_I0+0+0+0+1], v[vgprValuA_X3_I0+14+0+0:vgprValuA_X3_I0+14+0+0+1], a[28:31]
/*  mfmaIndex:200  */
/* pack scheduling: packAIdx:16, packBIdx:4 */
v_perm_b32 v[vgprValuB_X3_I0+4], v[vgprValuB_X3_I0_D1+1], v[vgprValuB_X3_I0_D0+1], s[sgprPackKForV0] // select K=01 for vector=0
v_perm_b32 v[vgprValuB_X3_I0+5], v[vgprValuB_X3_I0_D3+1], v[vgprValuB_X3_I0_D2+1], s[sgprPackKForV0] // select K=23 for vector=0
v_mfma_f32_16x16x16_f16 a[60+0:63+0], v[vgprValuB_X3_I0+2+0+0:vgprValuB_X3_I0+2+0+0+1], v[vgprValuA_X3_I0+14+0+0:vgprValuA_X3_I0+14+0+0+1], a[60:63]
/*  mfmaIndex:201  */
/* pack scheduling: packAIdx:16, packBIdx:4 */
v_perm_b32 v[vgprValuB_X3_I0+6], v[vgprValuB_X3_I0_D1+1], v[vgprValuB_X3_I0_D0+1], s[sgprPackKForV1] // select K=01 for vector=1
v_perm_b32 v[vgprValuB_X3_I0+7], v[vgprValuB_X3_I0_D3+1], v[vgprValuB_X3_I0_D2+1], s[sgprPackKForV1] // select K=23 for vector=1
v_mfma_f32_16x16x16_f16 a[56+0:59+0], v[vgprValuB_X3_I0+2+0+0:vgprValuB_X3_I0+2+0+0+1], v[vgprValuA_X3_I0+12+0+0:vgprValuA_X3_I0+12+0+0+1], a[56:59]
/*  mfmaIndex:202  */
/* pack scheduling: packAIdx:16, packBIdx:4 */
v_perm_b32 v[vgprValuB_X3_I0+8], v[vgprValuB_X3_I0_D1+2], v[vgprValuB_X3_I0_D0+2], s[sgprPackKForV0] // select K=01 for vector=0
v_perm_b32 v[vgprValuB_X3_I0+9], v[vgprValuB_X3_I0_D3+2], v[vgprValuB_X3_I0_D2+2], s[sgprPackKForV0] // select K=23 for vector=0
	;; [unrolled: 10-line block ×3, first 2 shown]
v_mfma_f32_16x16x16_f16 a[44+0:47+0], v[vgprValuB_X3_I0+2+0+0:vgprValuB_X3_I0+2+0+0+1], v[vgprValuA_X3_I0+6+0+0:vgprValuA_X3_I0+6+0+0+1], a[44:47]
/*  mfmaIndex:205  */
/* sched write - iter 3 writesPerItem=1 */
s_waitcnt vmcnt(0)                                 // lgkmcnt=-1 vmcnt=0wait for global read before writing to local
_ds_store_b128 v[vgprLocalWriteAddrB], v[vgprG2LB+20:vgprG2LB+20+3] offset:5120 // lwoB_0_0_5_0 = (0*LSCB) + (5*LSPB)(*MT1J+PAD) = 5120
/* pack scheduling: packAIdx:16, packBIdx:4 */
v_perm_b32 v[vgprValuB_X3_I0+14], v[vgprValuB_X3_I0_D1+3], v[vgprValuB_X3_I0_D0+3], s[sgprPackKForV1] // select K=01 for vector=1
v_perm_b32 v[vgprValuB_X3_I0+15], v[vgprValuB_X3_I0_D3+3], v[vgprValuB_X3_I0_D2+3], s[sgprPackKForV1] // select K=23 for vector=1
v_mfma_f32_16x16x16_f16 a[40+0:43+0], v[vgprValuB_X3_I0+2+0+0:vgprValuB_X3_I0+2+0+0+1], v[vgprValuA_X3_I0+4+0+0:vgprValuA_X3_I0+4+0+0+1], a[40:43]
/*  mfmaIndex:206  */
_buffer_load_b128 v[vgprG2LB+20:vgprG2LB+20+3], v[vgprGlobalReadOffsetB+0], s[sgprSrdB:sgprSrdB+3], s[sgprScalarGlobalReadOffsetB+4], offen offset:0 // G -> Reg 0_0_5_0
v_mfma_f32_16x16x16_f16 a[36+0:39+0], v[vgprValuB_X3_I0+2+0+0:vgprValuB_X3_I0+2+0+0+1], v[vgprValuA_X3_I0+2+0+0:vgprValuA_X3_I0+2+0+0+1], a[36:39]
/*  mfmaIndex:207  */
v_mfma_f32_16x16x16_f16 a[32+0:35+0], v[vgprValuB_X3_I0+2+0+0:vgprValuB_X3_I0+2+0+0+1], v[vgprValuA_X3_I0+0+0+0:vgprValuA_X3_I0+0+0+0+1], a[32:35]
/*  mfmaIndex:208  */
	;; [unrolled: 2-line block ×10, first 2 shown]
/* sched write - iter 3 writesPerItem=1 */
s_waitcnt vmcnt(0)                                 // lgkmcnt=-1 vmcnt=0wait for global read before writing to local
_ds_store_b128 v[vgprLocalWriteAddrB], v[vgprG2LB+24:vgprG2LB+24+3] offset:6144 // lwoB_0_0_6_0 = (0*LSCB) + (6*LSPB)(*MT1J+PAD) = 6144
v_mfma_f32_16x16x16_f16 a[124+0:127+0], v[vgprValuB_X3_I0+6+0+0:vgprValuB_X3_I0+6+0+0+1], v[vgprValuA_X3_I0+14+0+0:vgprValuA_X3_I0+14+0+0+1], a[124:127]
/*  mfmaIndex:217  */
_buffer_load_b128 v[vgprG2LB+24:vgprG2LB+24+3], v[vgprGlobalReadOffsetB+0], s[sgprSrdB:sgprSrdB+3], s[sgprScalarGlobalReadOffsetB+5], offen offset:0 // G -> Reg 0_0_6_0
v_mfma_f32_16x16x16_f16 a[120+0:123+0], v[vgprValuB_X3_I0+6+0+0:vgprValuB_X3_I0+6+0+0+1], v[vgprValuA_X3_I0+12+0+0:vgprValuA_X3_I0+12+0+0+1], a[120:123]
/*  mfmaIndex:218  */
v_mfma_f32_16x16x16_f16 a[116+0:119+0], v[vgprValuB_X3_I0+6+0+0:vgprValuB_X3_I0+6+0+0+1], v[vgprValuA_X3_I0+10+0+0:vgprValuA_X3_I0+10+0+0+1], a[116:119]
/*  mfmaIndex:219  */
	;; [unrolled: 2-line block ×10, first 2 shown]
/* sched write - iter 3 writesPerItem=1 */
s_waitcnt vmcnt(0)                                 // lgkmcnt=-1 vmcnt=0wait for global read before writing to local
_ds_store_b128 v[vgprLocalWriteAddrB], v[vgprG2LB+28:vgprG2LB+28+3] offset:7168 // lwoB_0_0_7_0 = (0*LSCB) + (7*LSPB)(*MT1J+PAD) = 7168
v_mfma_f32_16x16x16_f16 a[140+0:143+0], v[vgprValuB_X3_I0+8+0+0:vgprValuB_X3_I0+8+0+0+1], v[vgprValuA_X3_I0+6+0+0:vgprValuA_X3_I0+6+0+0+1], a[140:143]
/*  mfmaIndex:228  */
_buffer_load_b128 v[vgprG2LB+28:vgprG2LB+28+3], v[vgprGlobalReadOffsetB+0], s[sgprSrdB:sgprSrdB+3], s[sgprScalarGlobalReadOffsetB+6], offen offset:0 // G -> Reg 0_0_7_0

/* local write swap offsets a */

/* local write swap offsets b */
v_mfma_f32_16x16x16_f16 a[144+0:147+0], v[vgprValuB_X3_I0+8+0+0:vgprValuB_X3_I0+8+0+0+1], v[vgprValuA_X3_I0+8+0+0:vgprValuA_X3_I0+8+0+0+1], a[144:147]
/*  mfmaIndex:229  */
v_mfma_f32_16x16x16_f16 a[148+0:151+0], v[vgprValuB_X3_I0+8+0+0:vgprValuB_X3_I0+8+0+0+1], v[vgprValuA_X3_I0+10+0+0:vgprValuA_X3_I0+10+0+0+1], a[148:151]
/*  mfmaIndex:230  */
	;; [unrolled: 2-line block ×4, first 2 shown]
v_mfma_f32_16x16x16_f16 a[188+0:191+0], v[vgprValuB_X3_I0+10+0+0:vgprValuB_X3_I0+10+0+0+1], v[vgprValuA_X3_I0+14+0+0:vgprValuA_X3_I0+14+0+0+1], a[188:191]
s_setprio 0                                        // store optimization
/*  mfmaIndex:233  */
s_waitcnt lgkmcnt(0)                               // lgkmcnt=0 vmcnt=-13wait for local write
// Skip force waitcnt0
s_barrier //
v_mfma_f32_16x16x16_f16 a[184+0:187+0], v[vgprValuB_X3_I0+10+0+0:vgprValuB_X3_I0+10+0+0+1], v[vgprValuA_X3_I0+12+0+0:vgprValuA_X3_I0+12+0+0+1], a[184:187]
/*  mfmaIndex:234  */
s_setprio 3                                        // store optimization
_ds_load_b64 v[vgprValuA_X0_I0_D0+0:vgprValuA_X0_I0_D0+0+1], v[vgprLocalReadAddrA] offset:0 // L -> Reg lro=0 swapByteOffset=0 ti=128 vIdx=0 rIdx=0 oIdx=0 buffer=0 iui=0
v_mfma_f32_16x16x16_f16 a[180+0:183+0], v[vgprValuB_X3_I0+10+0+0:vgprValuB_X3_I0+10+0+0+1], v[vgprValuA_X3_I0+10+0+0:vgprValuA_X3_I0+10+0+0+1], a[180:183]
/*  mfmaIndex:235  */
_ds_load_b64 v[vgprValuA_X0_I0_D1+0:vgprValuA_X0_I0_D1+0+1], v[vgprLocalReadAddrA] offset:512 // L -> Reg lro=0 swapByteOffset=0 ti=128 vIdx=0 rIdx=1 oIdx=0 buffer=0 iui=0
v_mfma_f32_16x16x16_f16 a[176+0:179+0], v[vgprValuB_X3_I0+10+0+0:vgprValuB_X3_I0+10+0+0+1], v[vgprValuA_X3_I0+8+0+0:vgprValuA_X3_I0+8+0+0+1], a[176:179]
/*  mfmaIndex:236  */
_ds_load_b64 v[vgprValuA_X0_I0_D2+0:vgprValuA_X0_I0_D2+0+1], v[vgprLocalReadAddrA] offset:1024 // L -> Reg lro=0 swapByteOffset=0 ti=128 vIdx=0 rIdx=2 oIdx=0 buffer=0 iui=0
v_mfma_f32_16x16x16_f16 a[172+0:175+0], v[vgprValuB_X3_I0+10+0+0:vgprValuB_X3_I0+10+0+0+1], v[vgprValuA_X3_I0+6+0+0:vgprValuA_X3_I0+6+0+0+1], a[172:175]
/*  mfmaIndex:237  */
_ds_load_b64 v[vgprValuA_X0_I0_D3+0:vgprValuA_X0_I0_D3+0+1], v[vgprLocalReadAddrA] offset:1536 // L -> Reg lro=0 swapByteOffset=0 ti=128 vIdx=0 rIdx=3 oIdx=0 buffer=0 iui=0
v_mfma_f32_16x16x16_f16 a[168+0:171+0], v[vgprValuB_X3_I0+10+0+0:vgprValuB_X3_I0+10+0+0+1], v[vgprValuA_X3_I0+4+0+0:vgprValuA_X3_I0+4+0+0+1], a[168:171]
/*  mfmaIndex:238  */
_ds_load_b64 v[vgprValuB_X0_I0_D0+0:vgprValuB_X0_I0_D0+0+1], v[vgprLocalReadAddrB] offset:0 // L -> Reg lro=0 swapByteOffset=0 ti=128 vIdx=0 rIdx=0 oIdx=0 buffer=0 iui=0
v_mfma_f32_16x16x16_f16 a[164+0:167+0], v[vgprValuB_X3_I0+10+0+0:vgprValuB_X3_I0+10+0+0+1], v[vgprValuA_X3_I0+2+0+0:vgprValuA_X3_I0+2+0+0+1], a[164:167]
/*  mfmaIndex:239  */
_ds_load_b64 v[vgprValuB_X0_I0_D1+0:vgprValuB_X0_I0_D1+0+1], v[vgprLocalReadAddrB] offset:512 // L -> Reg lro=0 swapByteOffset=0 ti=128 vIdx=0 rIdx=1 oIdx=0 buffer=0 iui=0
v_mfma_f32_16x16x16_f16 a[160+0:163+0], v[vgprValuB_X3_I0+10+0+0:vgprValuB_X3_I0+10+0+0+1], v[vgprValuA_X3_I0+0+0+0:vgprValuA_X3_I0+0+0+0+1], a[160:163]
/*  mfmaIndex:240  */
_ds_load_b64 v[vgprValuB_X0_I0_D2+0:vgprValuB_X0_I0_D2+0+1], v[vgprLocalReadAddrB] offset:1024 // L -> Reg lro=0 swapByteOffset=0 ti=128 vIdx=0 rIdx=2 oIdx=0 buffer=0 iui=0
v_mfma_f32_16x16x16_f16 a[192+0:195+0], v[vgprValuB_X3_I0+12+0+0:vgprValuB_X3_I0+12+0+0+1], v[vgprValuA_X3_I0+0+0+0:vgprValuA_X3_I0+0+0+0+1], a[192:195]
/*  mfmaIndex:241  */
_ds_load_b64 v[vgprValuB_X0_I0_D3+0:vgprValuB_X0_I0_D3+0+1], v[vgprLocalReadAddrB] offset:1536 // L -> Reg lro=0 swapByteOffset=0 ti=128 vIdx=0 rIdx=3 oIdx=0 buffer=0 iui=0
v_mfma_f32_16x16x16_f16 a[196+0:199+0], v[vgprValuB_X3_I0+12+0+0:vgprValuB_X3_I0+12+0+0+1], v[vgprValuA_X3_I0+2+0+0:vgprValuA_X3_I0+2+0+0+1], a[196:199]
/*  mfmaIndex:242  */
_ds_load_b64 v[vgprValuA_X0_I0_D0+2:vgprValuA_X0_I0_D0+2+1], v[vgprLocalReadAddrA] offset:256 // L -> Reg lro=0 swapByteOffset=0 ti=128 vIdx=1 rIdx=0 oIdx=0 buffer=0 iui=0
v_mfma_f32_16x16x16_f16 a[200+0:203+0], v[vgprValuB_X3_I0+12+0+0:vgprValuB_X3_I0+12+0+0+1], v[vgprValuA_X3_I0+4+0+0:vgprValuA_X3_I0+4+0+0+1], a[200:203]
/*  mfmaIndex:243  */
_ds_load_b64 v[vgprValuA_X0_I0_D1+2:vgprValuA_X0_I0_D1+2+1], v[vgprLocalReadAddrA] offset:768 // L -> Reg lro=0 swapByteOffset=0 ti=128 vIdx=1 rIdx=1 oIdx=0 buffer=0 iui=0
v_mfma_f32_16x16x16_f16 a[204+0:207+0], v[vgprValuB_X3_I0+12+0+0:vgprValuB_X3_I0+12+0+0+1], v[vgprValuA_X3_I0+6+0+0:vgprValuA_X3_I0+6+0+0+1], a[204:207]
/*  mfmaIndex:244  */
_ds_load_b64 v[vgprValuA_X0_I0_D2+2:vgprValuA_X0_I0_D2+2+1], v[vgprLocalReadAddrA] offset:1280 // L -> Reg lro=0 swapByteOffset=0 ti=128 vIdx=1 rIdx=2 oIdx=0 buffer=0 iui=0
v_mfma_f32_16x16x16_f16 a[208+0:211+0], v[vgprValuB_X3_I0+12+0+0:vgprValuB_X3_I0+12+0+0+1], v[vgprValuA_X3_I0+8+0+0:vgprValuA_X3_I0+8+0+0+1], a[208:211]
/*  mfmaIndex:245  */
_ds_load_b64 v[vgprValuA_X0_I0_D3+2:vgprValuA_X0_I0_D3+2+1], v[vgprLocalReadAddrA] offset:1792 // L -> Reg lro=0 swapByteOffset=0 ti=128 vIdx=1 rIdx=3 oIdx=0 buffer=0 iui=0
v_mfma_f32_16x16x16_f16 a[212+0:215+0], v[vgprValuB_X3_I0+12+0+0:vgprValuB_X3_I0+12+0+0+1], v[vgprValuA_X3_I0+10+0+0:vgprValuA_X3_I0+10+0+0+1], a[212:215]
/*  mfmaIndex:246  */
_ds_load_b64 v[vgprValuB_X0_I0_D0+2:vgprValuB_X0_I0_D0+2+1], v[vgprLocalReadAddrB] offset:256 // L -> Reg lro=0 swapByteOffset=0 ti=128 vIdx=1 rIdx=0 oIdx=0 buffer=0 iui=0
v_mfma_f32_16x16x16_f16 a[216+0:219+0], v[vgprValuB_X3_I0+12+0+0:vgprValuB_X3_I0+12+0+0+1], v[vgprValuA_X3_I0+12+0+0:vgprValuA_X3_I0+12+0+0+1], a[216:219]
/*  mfmaIndex:247  */
_ds_load_b64 v[vgprValuB_X0_I0_D1+2:vgprValuB_X0_I0_D1+2+1], v[vgprLocalReadAddrB] offset:768 // L -> Reg lro=0 swapByteOffset=0 ti=128 vIdx=1 rIdx=1 oIdx=0 buffer=0 iui=0
v_mfma_f32_16x16x16_f16 a[220+0:223+0], v[vgprValuB_X3_I0+12+0+0:vgprValuB_X3_I0+12+0+0+1], v[vgprValuA_X3_I0+14+0+0:vgprValuA_X3_I0+14+0+0+1], a[220:223]
/*  mfmaIndex:248  */
_ds_load_b64 v[vgprValuB_X0_I0_D2+2:vgprValuB_X0_I0_D2+2+1], v[vgprLocalReadAddrB] offset:1280 // L -> Reg lro=0 swapByteOffset=0 ti=128 vIdx=1 rIdx=2 oIdx=0 buffer=0 iui=0
v_mfma_f32_16x16x16_f16 a[252+0:255+0], v[vgprValuB_X3_I0+14+0+0:vgprValuB_X3_I0+14+0+0+1], v[vgprValuA_X3_I0+14+0+0:vgprValuA_X3_I0+14+0+0+1], a[252:255]
/*  mfmaIndex:249  */
_ds_load_b64 v[vgprValuB_X0_I0_D3+2:vgprValuB_X0_I0_D3+2+1], v[vgprLocalReadAddrB] offset:1792 // L -> Reg lro=0 swapByteOffset=0 ti=128 vIdx=1 rIdx=3 oIdx=0 buffer=0 iui=0
v_mfma_f32_16x16x16_f16 a[248+0:251+0], v[vgprValuB_X3_I0+14+0+0:vgprValuB_X3_I0+14+0+0+1], v[vgprValuA_X3_I0+12+0+0:vgprValuA_X3_I0+12+0+0+1], a[248:251]
/*  mfmaIndex:250  */
v_mfma_f32_16x16x16_f16 a[244+0:247+0], v[vgprValuB_X3_I0+14+0+0:vgprValuB_X3_I0+14+0+0+1], v[vgprValuA_X3_I0+10+0+0:vgprValuA_X3_I0+10+0+0+1], a[244:247]
/*  mfmaIndex:251  */
	;; [unrolled: 2-line block ×6, first 2 shown]
v_mfma_f32_16x16x16_f16 a[224+0:227+0], v[vgprValuB_X3_I0+14+0+0:vgprValuB_X3_I0+14+0+0+1], v[vgprValuA_X3_I0+0+0+0:vgprValuA_X3_I0+0+0+0+1], a[224:227]
s_setprio 0                                        // store optimization


/******************************************/
/* Unrolled Loop - End 2/2 (final)        */
/******************************************/


/* closeLoop loopL finalLoop=1 tailLoop=0 */
s_sub_u32 s[sgprLoopCounterL], s[sgprLoopCounterL], 1 // dec counterL
s_cmp_eq_i32 s[sgprLoopCounterL], 0x2              // counterL==2
s_cbranch_scc0 LoopBeginL_1                        // restart LoopL
LoopEndL_evenexit_4: // unroll loop eveniter exit
s_branch LoopEndL_2                                // exit unroll loopL (and skip second exit code)
LoopEndL_oddexit_3: // unroll loop odditer exit

/* Select high bank of LDS */
LoopEndL_2:


/* Before NLL: Check VGPR.checkin for INT8 LW */


/******************************************/
/* Ord. NoGlobalLoadLoop - Begin                                      */
/******************************************/


	;; [unrolled: 1-line block ×3, first 2 shown]
/* iter 0 */

/*  grEndMfmaIndex:12, lwStartMfmaIndex:61, lwEndMfmaIndex:228  */
/*  numMfmaForLR:22, barrierMfmaIndex:233, LocalWritePerMfma:0.090 */
/*  mfmaIndex:0  */
s_waitcnt lgkmcnt(0)                               // lgkmcnt=0 vmcnt=-1wait for prior local read local write old=0, new=0 newLW=0 newLR=0
/* pack scheduling: packAIdx:2, packBIdx:2 */
v_perm_b32 v[vgprValuA_X0_I0+0], v[vgprValuA_X0_I0_D1+0], v[vgprValuA_X0_I0_D0+0], s[sgprPackKForV0] // select K=01 for vector=0
v_perm_b32 v[vgprValuA_X0_I0+1], v[vgprValuA_X0_I0_D3+0], v[vgprValuA_X0_I0_D2+0], s[sgprPackKForV0] // select K=23 for vector=0
v_perm_b32 v[vgprValuB_X0_I0+0], v[vgprValuB_X0_I0_D1+0], v[vgprValuB_X0_I0_D0+0], s[sgprPackKForV0] // select K=01 for vector=0
v_perm_b32 v[vgprValuB_X0_I0+1], v[vgprValuB_X0_I0_D3+0], v[vgprValuB_X0_I0_D2+0], s[sgprPackKForV0] // select K=23 for vector=0
v_perm_b32 v[vgprValuA_X0_I0+2], v[vgprValuA_X0_I0_D1+0], v[vgprValuA_X0_I0_D0+0], s[sgprPackKForV1] // select K=01 for vector=1
v_perm_b32 v[vgprValuA_X0_I0+3], v[vgprValuA_X0_I0_D3+0], v[vgprValuA_X0_I0_D2+0], s[sgprPackKForV1] // select K=23 for vector=1
v_mfma_f32_16x16x16_f16 a[0+0:3+0], v[vgprValuB_X0_I0+0+0+0:vgprValuB_X0_I0+0+0+0+1], v[vgprValuA_X0_I0+0+0+0:vgprValuA_X0_I0+0+0+0+1], a[0:3]
/*  mfmaIndex:1  */
_ds_load_b64 v[vgprValuA_X1_I0_D0+0:vgprValuA_X1_I0_D0+0+1], v[vgprLocalReadAddrA] offset:8192 // L -> Reg lro=4096 swapByteOffset=0 ti=128 vIdx=0 rIdx=0 oIdx=0 buffer=1 iui=0

/* global read inc A loopL */
s_add_u32 s[sgprSrdA+0], s[sgprSrdA+0], s[sgprGlobalReadIncsA+0] // gra SRD += inc(lower)
/* pack scheduling: packAIdx:4, packBIdx:2 */
v_perm_b32 v[vgprValuA_X0_I0+4], v[vgprValuA_X0_I0_D1+1], v[vgprValuA_X0_I0_D0+1], s[sgprPackKForV0] // select K=01 for vector=0
v_perm_b32 v[vgprValuA_X0_I0+5], v[vgprValuA_X0_I0_D3+1], v[vgprValuA_X0_I0_D2+1], s[sgprPackKForV0] // select K=23 for vector=0
v_mfma_f32_16x16x16_f16 a[4+0:7+0], v[vgprValuB_X0_I0+0+0+0:vgprValuB_X0_I0+0+0+0+1], v[vgprValuA_X0_I0+2+0+0:vgprValuA_X0_I0+2+0+0+1], a[4:7]
/*  mfmaIndex:2  */
_ds_load_b64 v[vgprValuA_X1_I0_D1+0:vgprValuA_X1_I0_D1+0+1], v[vgprLocalReadAddrA] offset:8704 // L -> Reg lro=4096 swapByteOffset=0 ti=128 vIdx=0 rIdx=1 oIdx=0 buffer=1 iui=0
s_addc_u32  s[sgprSrdA+1], s[sgprSrdA+1], 0        // gra SRD += inc(upper)
/* pack scheduling: packAIdx:6, packBIdx:2 */
v_perm_b32 v[vgprValuA_X0_I0+6], v[vgprValuA_X0_I0_D1+1], v[vgprValuA_X0_I0_D0+1], s[sgprPackKForV1] // select K=01 for vector=1
v_perm_b32 v[vgprValuA_X0_I0+7], v[vgprValuA_X0_I0_D3+1], v[vgprValuA_X0_I0_D2+1], s[sgprPackKForV1] // select K=23 for vector=1
v_mfma_f32_16x16x16_f16 a[8+0:11+0], v[vgprValuB_X0_I0+0+0+0:vgprValuB_X0_I0+0+0+0+1], v[vgprValuA_X0_I0+4+0+0:vgprValuA_X0_I0+4+0+0+1], a[8:11]
/*  mfmaIndex:3  */
_ds_load_b64 v[vgprValuA_X1_I0_D2+0:vgprValuA_X1_I0_D2+0+1], v[vgprLocalReadAddrA] offset:9216 // L -> Reg lro=4096 swapByteOffset=0 ti=128 vIdx=0 rIdx=2 oIdx=0 buffer=1 iui=0
s_sub_u32 s[sgprShadowLimitA+0], s[sgprShadowLimitA+0], s[sgprGlobalReadIncsA+0] // limit -= inc)
/* pack scheduling: packAIdx:8, packBIdx:2 */
v_perm_b32 v[vgprValuA_X0_I0+8], v[vgprValuA_X0_I0_D1+2], v[vgprValuA_X0_I0_D0+2], s[sgprPackKForV0] // select K=01 for vector=0
v_perm_b32 v[vgprValuA_X0_I0+9], v[vgprValuA_X0_I0_D3+2], v[vgprValuA_X0_I0_D2+2], s[sgprPackKForV0] // select K=23 for vector=0
v_mfma_f32_16x16x16_f16 a[12+0:15+0], v[vgprValuB_X0_I0+0+0+0:vgprValuB_X0_I0+0+0+0+1], v[vgprValuA_X0_I0+6+0+0:vgprValuA_X0_I0+6+0+0+1], a[12:15]
/*  mfmaIndex:4  */
_ds_load_b64 v[vgprValuA_X1_I0_D3+0:vgprValuA_X1_I0_D3+0+1], v[vgprLocalReadAddrA] offset:9728 // L -> Reg lro=4096 swapByteOffset=0 ti=128 vIdx=0 rIdx=3 oIdx=0 buffer=1 iui=0
s_subb_u32 s[sgprShadowLimitA+1], s[sgprShadowLimitA+1], 0 // limit -= inc)
/* pack scheduling: packAIdx:10, packBIdx:2 */
v_perm_b32 v[vgprValuA_X0_I0+10], v[vgprValuA_X0_I0_D1+2], v[vgprValuA_X0_I0_D0+2], s[sgprPackKForV1] // select K=01 for vector=1
v_perm_b32 v[vgprValuA_X0_I0+11], v[vgprValuA_X0_I0_D3+2], v[vgprValuA_X0_I0_D2+2], s[sgprPackKForV1] // select K=23 for vector=1
v_mfma_f32_16x16x16_f16 a[16+0:19+0], v[vgprValuB_X0_I0+0+0+0:vgprValuB_X0_I0+0+0+0+1], v[vgprValuA_X0_I0+8+0+0:vgprValuA_X0_I0+8+0+0+1], a[16:19]
/*  mfmaIndex:5  */
_ds_load_b64 v[vgprValuB_X1_I0_D0+0:vgprValuB_X1_I0_D0+0+1], v[vgprLocalReadAddrB] offset:8192 // L -> Reg lro=4096 swapByteOffset=0 ti=128 vIdx=0 rIdx=0 oIdx=0 buffer=1 iui=0
s_cmp_eq_u32 s[sgprShadowLimitA+1], 0              // are we within 2^32?
/* pack scheduling: packAIdx:12, packBIdx:2 */
v_perm_b32 v[vgprValuA_X0_I0+12], v[vgprValuA_X0_I0_D1+3], v[vgprValuA_X0_I0_D0+3], s[sgprPackKForV0] // select K=01 for vector=0
v_perm_b32 v[vgprValuA_X0_I0+13], v[vgprValuA_X0_I0_D3+3], v[vgprValuA_X0_I0_D2+3], s[sgprPackKForV0] // select K=23 for vector=0
v_mfma_f32_16x16x16_f16 a[20+0:23+0], v[vgprValuB_X0_I0+0+0+0:vgprValuB_X0_I0+0+0+0+1], v[vgprValuA_X0_I0+10+0+0:vgprValuA_X0_I0+10+0+0+1], a[20:23]
/*  mfmaIndex:6  */
_ds_load_b64 v[vgprValuB_X1_I0_D1+0:vgprValuB_X1_I0_D1+0+1], v[vgprLocalReadAddrB] offset:8704 // L -> Reg lro=4096 swapByteOffset=0 ti=128 vIdx=0 rIdx=1 oIdx=0 buffer=1 iui=0
s_cmov_b32 s[sgprSrdA+2], s[sgprShadowLimitA+0]    // Move shadow to real if we are within 2^32
/* pack scheduling: packAIdx:14, packBIdx:2 */
v_perm_b32 v[vgprValuA_X0_I0+14], v[vgprValuA_X0_I0_D1+3], v[vgprValuA_X0_I0_D0+3], s[sgprPackKForV1] // select K=01 for vector=1
v_perm_b32 v[vgprValuA_X0_I0+15], v[vgprValuA_X0_I0_D3+3], v[vgprValuA_X0_I0_D2+3], s[sgprPackKForV1] // select K=23 for vector=1
v_mfma_f32_16x16x16_f16 a[24+0:27+0], v[vgprValuB_X0_I0+0+0+0:vgprValuB_X0_I0+0+0+0+1], v[vgprValuA_X0_I0+12+0+0:vgprValuA_X0_I0+12+0+0+1], a[24:27]
/*  mfmaIndex:7  */
_ds_load_b64 v[vgprValuB_X1_I0_D2+0:vgprValuB_X1_I0_D2+0+1], v[vgprLocalReadAddrB] offset:9216 // L -> Reg lro=4096 swapByteOffset=0 ti=128 vIdx=0 rIdx=2 oIdx=0 buffer=1 iui=0

/* global read inc B loopL */
s_add_u32 s[sgprSrdB+0], s[sgprSrdB+0], s[sgprGlobalReadIncsB+0] // gra SRD += inc(lower)
/* pack scheduling: packAIdx:16, packBIdx:2 */
v_perm_b32 v[vgprValuB_X0_I0+2], v[vgprValuB_X0_I0_D1+0], v[vgprValuB_X0_I0_D0+0], s[sgprPackKForV1] // select K=01 for vector=1
v_perm_b32 v[vgprValuB_X0_I0+3], v[vgprValuB_X0_I0_D3+0], v[vgprValuB_X0_I0_D2+0], s[sgprPackKForV1] // select K=23 for vector=1
v_mfma_f32_16x16x16_f16 a[28+0:31+0], v[vgprValuB_X0_I0+0+0+0:vgprValuB_X0_I0+0+0+0+1], v[vgprValuA_X0_I0+14+0+0:vgprValuA_X0_I0+14+0+0+1], a[28:31]
/*  mfmaIndex:8  */
_ds_load_b64 v[vgprValuB_X1_I0_D3+0:vgprValuB_X1_I0_D3+0+1], v[vgprLocalReadAddrB] offset:9728 // L -> Reg lro=4096 swapByteOffset=0 ti=128 vIdx=0 rIdx=3 oIdx=0 buffer=1 iui=0
s_addc_u32  s[sgprSrdB+1], s[sgprSrdB+1], 0        // gra SRD += inc(upper)
/* pack scheduling: packAIdx:16, packBIdx:4 */
v_perm_b32 v[vgprValuB_X0_I0+4], v[vgprValuB_X0_I0_D1+1], v[vgprValuB_X0_I0_D0+1], s[sgprPackKForV0] // select K=01 for vector=0
v_perm_b32 v[vgprValuB_X0_I0+5], v[vgprValuB_X0_I0_D3+1], v[vgprValuB_X0_I0_D2+1], s[sgprPackKForV0] // select K=23 for vector=0
v_mfma_f32_16x16x16_f16 a[60+0:63+0], v[vgprValuB_X0_I0+2+0+0:vgprValuB_X0_I0+2+0+0+1], v[vgprValuA_X0_I0+14+0+0:vgprValuA_X0_I0+14+0+0+1], a[60:63]
/*  mfmaIndex:9  */
_ds_load_b64 v[vgprValuA_X1_I0_D0+2:vgprValuA_X1_I0_D0+2+1], v[vgprLocalReadAddrA] offset:8448 // L -> Reg lro=4096 swapByteOffset=0 ti=128 vIdx=1 rIdx=0 oIdx=0 buffer=1 iui=0
s_sub_u32 s[sgprShadowLimitB+0], s[sgprShadowLimitB+0], s[sgprGlobalReadIncsB+0] // limit -= inc)
/* pack scheduling: packAIdx:16, packBIdx:4 */
v_perm_b32 v[vgprValuB_X0_I0+6], v[vgprValuB_X0_I0_D1+1], v[vgprValuB_X0_I0_D0+1], s[sgprPackKForV1] // select K=01 for vector=1
v_perm_b32 v[vgprValuB_X0_I0+7], v[vgprValuB_X0_I0_D3+1], v[vgprValuB_X0_I0_D2+1], s[sgprPackKForV1] // select K=23 for vector=1
v_mfma_f32_16x16x16_f16 a[56+0:59+0], v[vgprValuB_X0_I0+2+0+0:vgprValuB_X0_I0+2+0+0+1], v[vgprValuA_X0_I0+12+0+0:vgprValuA_X0_I0+12+0+0+1], a[56:59]
/*  mfmaIndex:10  */
_ds_load_b64 v[vgprValuA_X1_I0_D1+2:vgprValuA_X1_I0_D1+2+1], v[vgprLocalReadAddrA] offset:8960 // L -> Reg lro=4096 swapByteOffset=0 ti=128 vIdx=1 rIdx=1 oIdx=0 buffer=1 iui=0
s_subb_u32 s[sgprShadowLimitB+1], s[sgprShadowLimitB+1], 0 // limit -= inc)
/* pack scheduling: packAIdx:16, packBIdx:4 */
v_perm_b32 v[vgprValuB_X0_I0+8], v[vgprValuB_X0_I0_D1+2], v[vgprValuB_X0_I0_D0+2], s[sgprPackKForV0] // select K=01 for vector=0
v_perm_b32 v[vgprValuB_X0_I0+9], v[vgprValuB_X0_I0_D3+2], v[vgprValuB_X0_I0_D2+2], s[sgprPackKForV0] // select K=23 for vector=0
v_mfma_f32_16x16x16_f16 a[52+0:55+0], v[vgprValuB_X0_I0+2+0+0:vgprValuB_X0_I0+2+0+0+1], v[vgprValuA_X0_I0+10+0+0:vgprValuA_X0_I0+10+0+0+1], a[52:55]
/*  mfmaIndex:11  */
_ds_load_b64 v[vgprValuA_X1_I0_D2+2:vgprValuA_X1_I0_D2+2+1], v[vgprLocalReadAddrA] offset:9472 // L -> Reg lro=4096 swapByteOffset=0 ti=128 vIdx=1 rIdx=2 oIdx=0 buffer=1 iui=0
s_cmp_eq_u32 s[sgprShadowLimitB+1], 0              // are we within 2^32?
/* pack scheduling: packAIdx:16, packBIdx:4 */
v_perm_b32 v[vgprValuB_X0_I0+10], v[vgprValuB_X0_I0_D1+2], v[vgprValuB_X0_I0_D0+2], s[sgprPackKForV1] // select K=01 for vector=1
v_perm_b32 v[vgprValuB_X0_I0+11], v[vgprValuB_X0_I0_D3+2], v[vgprValuB_X0_I0_D2+2], s[sgprPackKForV1] // select K=23 for vector=1
v_mfma_f32_16x16x16_f16 a[48+0:51+0], v[vgprValuB_X0_I0+2+0+0:vgprValuB_X0_I0+2+0+0+1], v[vgprValuA_X0_I0+8+0+0:vgprValuA_X0_I0+8+0+0+1], a[48:51]
/*  mfmaIndex:12  */
_ds_load_b64 v[vgprValuA_X1_I0_D3+2:vgprValuA_X1_I0_D3+2+1], v[vgprLocalReadAddrA] offset:9984 // L -> Reg lro=4096 swapByteOffset=0 ti=128 vIdx=1 rIdx=3 oIdx=0 buffer=1 iui=0
s_cmov_b32 s[sgprSrdB+2], s[sgprShadowLimitB+0]    // Move shadow to real if we are within 2^32
/* pack scheduling: packAIdx:16, packBIdx:4 */
v_perm_b32 v[vgprValuB_X0_I0+12], v[vgprValuB_X0_I0_D1+3], v[vgprValuB_X0_I0_D0+3], s[sgprPackKForV0] // select K=01 for vector=0
v_perm_b32 v[vgprValuB_X0_I0+13], v[vgprValuB_X0_I0_D3+3], v[vgprValuB_X0_I0_D2+3], s[sgprPackKForV0] // select K=23 for vector=0
v_mfma_f32_16x16x16_f16 a[44+0:47+0], v[vgprValuB_X0_I0+2+0+0:vgprValuB_X0_I0+2+0+0+1], v[vgprValuA_X0_I0+6+0+0:vgprValuA_X0_I0+6+0+0+1], a[44:47]
/*  mfmaIndex:13  */
_ds_load_b64 v[vgprValuB_X1_I0_D0+2:vgprValuB_X1_I0_D0+2+1], v[vgprLocalReadAddrB] offset:8448 // L -> Reg lro=4096 swapByteOffset=0 ti=128 vIdx=1 rIdx=0 oIdx=0 buffer=1 iui=0
/* pack scheduling: packAIdx:16, packBIdx:4 */
v_perm_b32 v[vgprValuB_X0_I0+14], v[vgprValuB_X0_I0_D1+3], v[vgprValuB_X0_I0_D0+3], s[sgprPackKForV1] // select K=01 for vector=1
v_perm_b32 v[vgprValuB_X0_I0+15], v[vgprValuB_X0_I0_D3+3], v[vgprValuB_X0_I0_D2+3], s[sgprPackKForV1] // select K=23 for vector=1
v_mfma_f32_16x16x16_f16 a[40+0:43+0], v[vgprValuB_X0_I0+2+0+0:vgprValuB_X0_I0+2+0+0+1], v[vgprValuA_X0_I0+4+0+0:vgprValuA_X0_I0+4+0+0+1], a[40:43]
/*  mfmaIndex:14  */
_ds_load_b64 v[vgprValuB_X1_I0_D1+2:vgprValuB_X1_I0_D1+2+1], v[vgprLocalReadAddrB] offset:8960 // L -> Reg lro=4096 swapByteOffset=0 ti=128 vIdx=1 rIdx=1 oIdx=0 buffer=1 iui=0
v_mfma_f32_16x16x16_f16 a[36+0:39+0], v[vgprValuB_X0_I0+2+0+0:vgprValuB_X0_I0+2+0+0+1], v[vgprValuA_X0_I0+2+0+0:vgprValuA_X0_I0+2+0+0+1], a[36:39]
/*  mfmaIndex:15  */
_ds_load_b64 v[vgprValuB_X1_I0_D2+2:vgprValuB_X1_I0_D2+2+1], v[vgprLocalReadAddrB] offset:9472 // L -> Reg lro=4096 swapByteOffset=0 ti=128 vIdx=1 rIdx=2 oIdx=0 buffer=1 iui=0
v_mfma_f32_16x16x16_f16 a[32+0:35+0], v[vgprValuB_X0_I0+2+0+0:vgprValuB_X0_I0+2+0+0+1], v[vgprValuA_X0_I0+0+0+0:vgprValuA_X0_I0+0+0+0+1], a[32:35]
/*  mfmaIndex:16  */
_ds_load_b64 v[vgprValuB_X1_I0_D3+2:vgprValuB_X1_I0_D3+2+1], v[vgprLocalReadAddrB] offset:9984 // L -> Reg lro=4096 swapByteOffset=0 ti=128 vIdx=1 rIdx=3 oIdx=0 buffer=1 iui=0
v_mfma_f32_16x16x16_f16 a[64+0:67+0], v[vgprValuB_X0_I0+4+0+0:vgprValuB_X0_I0+4+0+0+1], v[vgprValuA_X0_I0+0+0+0:vgprValuA_X0_I0+0+0+0+1], a[64:67]
/*  mfmaIndex:17  */
/* localReadsVacancy: latencyLeft 2 */
_ds_load_b64 v[vgprValuA_X2_I0_D0+0:vgprValuA_X2_I0_D0+0+1], v[vgprLocalReadAddrA] offset:16384 // L -> Reg lro=8192 swapByteOffset=0 ti=128 vIdx=0 rIdx=0 oIdx=0 buffer=2 iui=0
v_mfma_f32_16x16x16_f16 a[68+0:71+0], v[vgprValuB_X0_I0+4+0+0:vgprValuB_X0_I0+4+0+0+1], v[vgprValuA_X0_I0+2+0+0:vgprValuA_X0_I0+2+0+0+1], a[68:71]
/*  mfmaIndex:18  */
/* localReadsVacancy: latencyLeft 2 */
_ds_load_b64 v[vgprValuA_X2_I0_D1+0:vgprValuA_X2_I0_D1+0+1], v[vgprLocalReadAddrA] offset:16896 // L -> Reg lro=8192 swapByteOffset=0 ti=128 vIdx=0 rIdx=1 oIdx=0 buffer=2 iui=0
v_mfma_f32_16x16x16_f16 a[72+0:75+0], v[vgprValuB_X0_I0+4+0+0:vgprValuB_X0_I0+4+0+0+1], v[vgprValuA_X0_I0+4+0+0:vgprValuA_X0_I0+4+0+0+1], a[72:75]
/*  mfmaIndex:19  */
/* localReadsVacancy: latencyLeft 2 */
_ds_load_b64 v[vgprValuA_X2_I0_D2+0:vgprValuA_X2_I0_D2+0+1], v[vgprLocalReadAddrA] offset:17408 // L -> Reg lro=8192 swapByteOffset=0 ti=128 vIdx=0 rIdx=2 oIdx=0 buffer=2 iui=0
v_mfma_f32_16x16x16_f16 a[76+0:79+0], v[vgprValuB_X0_I0+4+0+0:vgprValuB_X0_I0+4+0+0+1], v[vgprValuA_X0_I0+6+0+0:vgprValuA_X0_I0+6+0+0+1], a[76:79]
/*  mfmaIndex:20  */
/* localReadsVacancy: latencyLeft 2 */
_ds_load_b64 v[vgprValuA_X2_I0_D3+0:vgprValuA_X2_I0_D3+0+1], v[vgprLocalReadAddrA] offset:17920 // L -> Reg lro=8192 swapByteOffset=0 ti=128 vIdx=0 rIdx=3 oIdx=0 buffer=2 iui=0
v_mfma_f32_16x16x16_f16 a[80+0:83+0], v[vgprValuB_X0_I0+4+0+0:vgprValuB_X0_I0+4+0+0+1], v[vgprValuA_X0_I0+8+0+0:vgprValuA_X0_I0+8+0+0+1], a[80:83]
/*  mfmaIndex:21  */
/* localReadsVacancy: latencyLeft 2 */
_ds_load_b64 v[vgprValuB_X2_I0_D0+0:vgprValuB_X2_I0_D0+0+1], v[vgprLocalReadAddrB] offset:16384 // L -> Reg lro=8192 swapByteOffset=0 ti=128 vIdx=0 rIdx=0 oIdx=0 buffer=2 iui=0
v_mfma_f32_16x16x16_f16 a[84+0:87+0], v[vgprValuB_X0_I0+4+0+0:vgprValuB_X0_I0+4+0+0+1], v[vgprValuA_X0_I0+10+0+0:vgprValuA_X0_I0+10+0+0+1], a[84:87]
/*  mfmaIndex:22  */
/* localReadsVacancy: latencyLeft 2 */
_ds_load_b64 v[vgprValuB_X2_I0_D1+0:vgprValuB_X2_I0_D1+0+1], v[vgprLocalReadAddrB] offset:16896 // L -> Reg lro=8192 swapByteOffset=0 ti=128 vIdx=0 rIdx=1 oIdx=0 buffer=2 iui=0
v_mfma_f32_16x16x16_f16 a[88+0:91+0], v[vgprValuB_X0_I0+4+0+0:vgprValuB_X0_I0+4+0+0+1], v[vgprValuA_X0_I0+12+0+0:vgprValuA_X0_I0+12+0+0+1], a[88:91]
/*  mfmaIndex:23  */
/* localReadsVacancy: latencyLeft 2 */
_ds_load_b64 v[vgprValuB_X2_I0_D2+0:vgprValuB_X2_I0_D2+0+1], v[vgprLocalReadAddrB] offset:17408 // L -> Reg lro=8192 swapByteOffset=0 ti=128 vIdx=0 rIdx=2 oIdx=0 buffer=2 iui=0
v_mfma_f32_16x16x16_f16 a[92+0:95+0], v[vgprValuB_X0_I0+4+0+0:vgprValuB_X0_I0+4+0+0+1], v[vgprValuA_X0_I0+14+0+0:vgprValuA_X0_I0+14+0+0+1], a[92:95]
/*  mfmaIndex:24  */
/* localReadsVacancy: latencyLeft 2 */
_ds_load_b64 v[vgprValuB_X2_I0_D3+0:vgprValuB_X2_I0_D3+0+1], v[vgprLocalReadAddrB] offset:17920 // L -> Reg lro=8192 swapByteOffset=0 ti=128 vIdx=0 rIdx=3 oIdx=0 buffer=2 iui=0
v_mfma_f32_16x16x16_f16 a[124+0:127+0], v[vgprValuB_X0_I0+6+0+0:vgprValuB_X0_I0+6+0+0+1], v[vgprValuA_X0_I0+14+0+0:vgprValuA_X0_I0+14+0+0+1], a[124:127]
/*  mfmaIndex:25  */
/* localReadsVacancy: latencyLeft 2 */
_ds_load_b64 v[vgprValuA_X2_I0_D0+2:vgprValuA_X2_I0_D0+2+1], v[vgprLocalReadAddrA] offset:16640 // L -> Reg lro=8192 swapByteOffset=0 ti=128 vIdx=1 rIdx=0 oIdx=0 buffer=2 iui=0
v_mfma_f32_16x16x16_f16 a[120+0:123+0], v[vgprValuB_X0_I0+6+0+0:vgprValuB_X0_I0+6+0+0+1], v[vgprValuA_X0_I0+12+0+0:vgprValuA_X0_I0+12+0+0+1], a[120:123]
/*  mfmaIndex:26  */
/* localReadsVacancy: latencyLeft 2 */
_ds_load_b64 v[vgprValuA_X2_I0_D1+2:vgprValuA_X2_I0_D1+2+1], v[vgprLocalReadAddrA] offset:17152 // L -> Reg lro=8192 swapByteOffset=0 ti=128 vIdx=1 rIdx=1 oIdx=0 buffer=2 iui=0
v_mfma_f32_16x16x16_f16 a[116+0:119+0], v[vgprValuB_X0_I0+6+0+0:vgprValuB_X0_I0+6+0+0+1], v[vgprValuA_X0_I0+10+0+0:vgprValuA_X0_I0+10+0+0+1], a[116:119]
/*  mfmaIndex:27  */
/* localReadsVacancy: latencyLeft 2 */
_ds_load_b64 v[vgprValuA_X2_I0_D2+2:vgprValuA_X2_I0_D2+2+1], v[vgprLocalReadAddrA] offset:17664 // L -> Reg lro=8192 swapByteOffset=0 ti=128 vIdx=1 rIdx=2 oIdx=0 buffer=2 iui=0
v_mfma_f32_16x16x16_f16 a[112+0:115+0], v[vgprValuB_X0_I0+6+0+0:vgprValuB_X0_I0+6+0+0+1], v[vgprValuA_X0_I0+8+0+0:vgprValuA_X0_I0+8+0+0+1], a[112:115]
/*  mfmaIndex:28  */
/* localReadsVacancy: latencyLeft 2 */
_ds_load_b64 v[vgprValuA_X2_I0_D3+2:vgprValuA_X2_I0_D3+2+1], v[vgprLocalReadAddrA] offset:18176 // L -> Reg lro=8192 swapByteOffset=0 ti=128 vIdx=1 rIdx=3 oIdx=0 buffer=2 iui=0
v_mfma_f32_16x16x16_f16 a[108+0:111+0], v[vgprValuB_X0_I0+6+0+0:vgprValuB_X0_I0+6+0+0+1], v[vgprValuA_X0_I0+6+0+0:vgprValuA_X0_I0+6+0+0+1], a[108:111]
/*  mfmaIndex:29  */
/* localReadsVacancy: latencyLeft 2 */
_ds_load_b64 v[vgprValuB_X2_I0_D0+2:vgprValuB_X2_I0_D0+2+1], v[vgprLocalReadAddrB] offset:16640 // L -> Reg lro=8192 swapByteOffset=0 ti=128 vIdx=1 rIdx=0 oIdx=0 buffer=2 iui=0
v_mfma_f32_16x16x16_f16 a[104+0:107+0], v[vgprValuB_X0_I0+6+0+0:vgprValuB_X0_I0+6+0+0+1], v[vgprValuA_X0_I0+4+0+0:vgprValuA_X0_I0+4+0+0+1], a[104:107]
/*  mfmaIndex:30  */
/* localReadsVacancy: latencyLeft 2 */
_ds_load_b64 v[vgprValuB_X2_I0_D1+2:vgprValuB_X2_I0_D1+2+1], v[vgprLocalReadAddrB] offset:17152 // L -> Reg lro=8192 swapByteOffset=0 ti=128 vIdx=1 rIdx=1 oIdx=0 buffer=2 iui=0
v_mfma_f32_16x16x16_f16 a[100+0:103+0], v[vgprValuB_X0_I0+6+0+0:vgprValuB_X0_I0+6+0+0+1], v[vgprValuA_X0_I0+2+0+0:vgprValuA_X0_I0+2+0+0+1], a[100:103]
/*  mfmaIndex:31  */
/* localReadsVacancy: latencyLeft 2 */
_ds_load_b64 v[vgprValuB_X2_I0_D2+2:vgprValuB_X2_I0_D2+2+1], v[vgprLocalReadAddrB] offset:17664 // L -> Reg lro=8192 swapByteOffset=0 ti=128 vIdx=1 rIdx=2 oIdx=0 buffer=2 iui=0
v_mfma_f32_16x16x16_f16 a[96+0:99+0], v[vgprValuB_X0_I0+6+0+0:vgprValuB_X0_I0+6+0+0+1], v[vgprValuA_X0_I0+0+0+0:vgprValuA_X0_I0+0+0+0+1], a[96:99]
/*  mfmaIndex:32  */
/* localReadsVacancy: latencyLeft 2 */
_ds_load_b64 v[vgprValuB_X2_I0_D3+2:vgprValuB_X2_I0_D3+2+1], v[vgprLocalReadAddrB] offset:18176 // L -> Reg lro=8192 swapByteOffset=0 ti=128 vIdx=1 rIdx=3 oIdx=0 buffer=2 iui=0
v_mfma_f32_16x16x16_f16 a[128+0:131+0], v[vgprValuB_X0_I0+8+0+0:vgprValuB_X0_I0+8+0+0+1], v[vgprValuA_X0_I0+0+0+0:vgprValuA_X0_I0+0+0+0+1], a[128:131]
/*  mfmaIndex:33  */
/* localReadsVacancy: latencyLeft 2 */
_ds_load_b64 v[vgprValuA_X3_I0_D0+0:vgprValuA_X3_I0_D0+0+1], v[vgprLocalReadAddrA] offset:24576 // L -> Reg lro=12288 swapByteOffset=0 ti=128 vIdx=0 rIdx=0 oIdx=0 buffer=3 iui=0
v_mfma_f32_16x16x16_f16 a[132+0:135+0], v[vgprValuB_X0_I0+8+0+0:vgprValuB_X0_I0+8+0+0+1], v[vgprValuA_X0_I0+2+0+0:vgprValuA_X0_I0+2+0+0+1], a[132:135]
/*  mfmaIndex:34  */
/* localReadsVacancy: latencyLeft 2 */
_ds_load_b64 v[vgprValuA_X3_I0_D1+0:vgprValuA_X3_I0_D1+0+1], v[vgprLocalReadAddrA] offset:25088 // L -> Reg lro=12288 swapByteOffset=0 ti=128 vIdx=0 rIdx=1 oIdx=0 buffer=3 iui=0
v_mfma_f32_16x16x16_f16 a[136+0:139+0], v[vgprValuB_X0_I0+8+0+0:vgprValuB_X0_I0+8+0+0+1], v[vgprValuA_X0_I0+4+0+0:vgprValuA_X0_I0+4+0+0+1], a[136:139]
/*  mfmaIndex:35  */
/* localReadsVacancy: latencyLeft 2 */
_ds_load_b64 v[vgprValuA_X3_I0_D2+0:vgprValuA_X3_I0_D2+0+1], v[vgprLocalReadAddrA] offset:25600 // L -> Reg lro=12288 swapByteOffset=0 ti=128 vIdx=0 rIdx=2 oIdx=0 buffer=3 iui=0
v_mfma_f32_16x16x16_f16 a[140+0:143+0], v[vgprValuB_X0_I0+8+0+0:vgprValuB_X0_I0+8+0+0+1], v[vgprValuA_X0_I0+6+0+0:vgprValuA_X0_I0+6+0+0+1], a[140:143]
/*  mfmaIndex:36  */
/* localReadsVacancy: latencyLeft 2 */
_ds_load_b64 v[vgprValuA_X3_I0_D3+0:vgprValuA_X3_I0_D3+0+1], v[vgprLocalReadAddrA] offset:26112 // L -> Reg lro=12288 swapByteOffset=0 ti=128 vIdx=0 rIdx=3 oIdx=0 buffer=3 iui=0
v_mfma_f32_16x16x16_f16 a[144+0:147+0], v[vgprValuB_X0_I0+8+0+0:vgprValuB_X0_I0+8+0+0+1], v[vgprValuA_X0_I0+8+0+0:vgprValuA_X0_I0+8+0+0+1], a[144:147]
/*  mfmaIndex:37  */
/* localReadsVacancy: latencyLeft 2 */
_ds_load_b64 v[vgprValuB_X3_I0_D0+0:vgprValuB_X3_I0_D0+0+1], v[vgprLocalReadAddrB] offset:24576 // L -> Reg lro=12288 swapByteOffset=0 ti=128 vIdx=0 rIdx=0 oIdx=0 buffer=3 iui=0
v_mfma_f32_16x16x16_f16 a[148+0:151+0], v[vgprValuB_X0_I0+8+0+0:vgprValuB_X0_I0+8+0+0+1], v[vgprValuA_X0_I0+10+0+0:vgprValuA_X0_I0+10+0+0+1], a[148:151]
/*  mfmaIndex:38  */
/* localReadsVacancy: latencyLeft 2 */
_ds_load_b64 v[vgprValuB_X3_I0_D1+0:vgprValuB_X3_I0_D1+0+1], v[vgprLocalReadAddrB] offset:25088 // L -> Reg lro=12288 swapByteOffset=0 ti=128 vIdx=0 rIdx=1 oIdx=0 buffer=3 iui=0
v_mfma_f32_16x16x16_f16 a[152+0:155+0], v[vgprValuB_X0_I0+8+0+0:vgprValuB_X0_I0+8+0+0+1], v[vgprValuA_X0_I0+12+0+0:vgprValuA_X0_I0+12+0+0+1], a[152:155]
/*  mfmaIndex:39  */
/* localReadsVacancy: latencyLeft 2 */
_ds_load_b64 v[vgprValuB_X3_I0_D2+0:vgprValuB_X3_I0_D2+0+1], v[vgprLocalReadAddrB] offset:25600 // L -> Reg lro=12288 swapByteOffset=0 ti=128 vIdx=0 rIdx=2 oIdx=0 buffer=3 iui=0
v_mfma_f32_16x16x16_f16 a[156+0:159+0], v[vgprValuB_X0_I0+8+0+0:vgprValuB_X0_I0+8+0+0+1], v[vgprValuA_X0_I0+14+0+0:vgprValuA_X0_I0+14+0+0+1], a[156:159]
/*  mfmaIndex:40  */
/* localReadsVacancy: latencyLeft 2 */
_ds_load_b64 v[vgprValuB_X3_I0_D3+0:vgprValuB_X3_I0_D3+0+1], v[vgprLocalReadAddrB] offset:26112 // L -> Reg lro=12288 swapByteOffset=0 ti=128 vIdx=0 rIdx=3 oIdx=0 buffer=3 iui=0
v_mfma_f32_16x16x16_f16 a[188+0:191+0], v[vgprValuB_X0_I0+10+0+0:vgprValuB_X0_I0+10+0+0+1], v[vgprValuA_X0_I0+14+0+0:vgprValuA_X0_I0+14+0+0+1], a[188:191]
/*  mfmaIndex:41  */
/* localReadsVacancy: latencyLeft 2 */
_ds_load_b64 v[vgprValuA_X3_I0_D0+2:vgprValuA_X3_I0_D0+2+1], v[vgprLocalReadAddrA] offset:24832 // L -> Reg lro=12288 swapByteOffset=0 ti=128 vIdx=1 rIdx=0 oIdx=0 buffer=3 iui=0
v_mfma_f32_16x16x16_f16 a[184+0:187+0], v[vgprValuB_X0_I0+10+0+0:vgprValuB_X0_I0+10+0+0+1], v[vgprValuA_X0_I0+12+0+0:vgprValuA_X0_I0+12+0+0+1], a[184:187]
/*  mfmaIndex:42  */
/* localReadsVacancy: latencyLeft 2 */
_ds_load_b64 v[vgprValuA_X3_I0_D1+2:vgprValuA_X3_I0_D1+2+1], v[vgprLocalReadAddrA] offset:25344 // L -> Reg lro=12288 swapByteOffset=0 ti=128 vIdx=1 rIdx=1 oIdx=0 buffer=3 iui=0
v_mfma_f32_16x16x16_f16 a[180+0:183+0], v[vgprValuB_X0_I0+10+0+0:vgprValuB_X0_I0+10+0+0+1], v[vgprValuA_X0_I0+10+0+0:vgprValuA_X0_I0+10+0+0+1], a[180:183]
/*  mfmaIndex:43  */
/* localReadsVacancy: latencyLeft 2 */
_ds_load_b64 v[vgprValuA_X3_I0_D2+2:vgprValuA_X3_I0_D2+2+1], v[vgprLocalReadAddrA] offset:25856 // L -> Reg lro=12288 swapByteOffset=0 ti=128 vIdx=1 rIdx=2 oIdx=0 buffer=3 iui=0
v_mfma_f32_16x16x16_f16 a[176+0:179+0], v[vgprValuB_X0_I0+10+0+0:vgprValuB_X0_I0+10+0+0+1], v[vgprValuA_X0_I0+8+0+0:vgprValuA_X0_I0+8+0+0+1], a[176:179]
/*  mfmaIndex:44  */
/* localReadsVacancy: latencyLeft 2 */
_ds_load_b64 v[vgprValuA_X3_I0_D3+2:vgprValuA_X3_I0_D3+2+1], v[vgprLocalReadAddrA] offset:26368 // L -> Reg lro=12288 swapByteOffset=0 ti=128 vIdx=1 rIdx=3 oIdx=0 buffer=3 iui=0
v_mfma_f32_16x16x16_f16 a[172+0:175+0], v[vgprValuB_X0_I0+10+0+0:vgprValuB_X0_I0+10+0+0+1], v[vgprValuA_X0_I0+6+0+0:vgprValuA_X0_I0+6+0+0+1], a[172:175]
/*  mfmaIndex:45  */
/* localReadsVacancy: latencyLeft 2 */
_ds_load_b64 v[vgprValuB_X3_I0_D0+2:vgprValuB_X3_I0_D0+2+1], v[vgprLocalReadAddrB] offset:24832 // L -> Reg lro=12288 swapByteOffset=0 ti=128 vIdx=1 rIdx=0 oIdx=0 buffer=3 iui=0
v_mfma_f32_16x16x16_f16 a[168+0:171+0], v[vgprValuB_X0_I0+10+0+0:vgprValuB_X0_I0+10+0+0+1], v[vgprValuA_X0_I0+4+0+0:vgprValuA_X0_I0+4+0+0+1], a[168:171]
/*  mfmaIndex:46  */
/* localReadsVacancy: latencyLeft 2 */
_ds_load_b64 v[vgprValuB_X3_I0_D1+2:vgprValuB_X3_I0_D1+2+1], v[vgprLocalReadAddrB] offset:25344 // L -> Reg lro=12288 swapByteOffset=0 ti=128 vIdx=1 rIdx=1 oIdx=0 buffer=3 iui=0
v_mfma_f32_16x16x16_f16 a[164+0:167+0], v[vgprValuB_X0_I0+10+0+0:vgprValuB_X0_I0+10+0+0+1], v[vgprValuA_X0_I0+2+0+0:vgprValuA_X0_I0+2+0+0+1], a[164:167]
/*  mfmaIndex:47  */
/* localReadsVacancy: latencyLeft 2 */
_ds_load_b64 v[vgprValuB_X3_I0_D2+2:vgprValuB_X3_I0_D2+2+1], v[vgprLocalReadAddrB] offset:25856 // L -> Reg lro=12288 swapByteOffset=0 ti=128 vIdx=1 rIdx=2 oIdx=0 buffer=3 iui=0
v_mfma_f32_16x16x16_f16 a[160+0:163+0], v[vgprValuB_X0_I0+10+0+0:vgprValuB_X0_I0+10+0+0+1], v[vgprValuA_X0_I0+0+0+0:vgprValuA_X0_I0+0+0+0+1], a[160:163]
/*  mfmaIndex:48  */
/* localReadsVacancy: latencyLeft 2 */
_ds_load_b64 v[vgprValuB_X3_I0_D3+2:vgprValuB_X3_I0_D3+2+1], v[vgprLocalReadAddrB] offset:26368 // L -> Reg lro=12288 swapByteOffset=0 ti=128 vIdx=1 rIdx=3 oIdx=0 buffer=3 iui=0
v_mfma_f32_16x16x16_f16 a[192+0:195+0], v[vgprValuB_X0_I0+12+0+0:vgprValuB_X0_I0+12+0+0+1], v[vgprValuA_X0_I0+0+0+0:vgprValuA_X0_I0+0+0+0+1], a[192:195]
/*  mfmaIndex:49  */
/* localReadsVacancy: latencyLeft 2 */
v_mfma_f32_16x16x16_f16 a[196+0:199+0], v[vgprValuB_X0_I0+12+0+0:vgprValuB_X0_I0+12+0+0+1], v[vgprValuA_X0_I0+2+0+0:vgprValuA_X0_I0+2+0+0+1], a[196:199]
/*  mfmaIndex:50  */
/* localReadsVacancy: latencyLeft 2 */
	;; [unrolled: 3-line block ×12, first 2 shown]
/* 1 LDS buffer: read-sync-write */
s_waitcnt lgkmcnt(0)                               // 
s_barrier                                          // 
v_mfma_f32_16x16x16_f16 a[236+0:239+0], v[vgprValuB_X0_I0+14+0+0:vgprValuB_X0_I0+14+0+0+1], v[vgprValuA_X0_I0+6+0+0:vgprValuA_X0_I0+6+0+0+1], a[236:239]
/*  mfmaIndex:61  */
s_setprio 3                                        // store optimization
/* sched write - iter 0 writesPerItem=1 */
s_waitcnt vmcnt(0)                                 // lgkmcnt=-1 vmcnt=0wait for global read before writing to local
_ds_store_b128 v[vgprLocalWriteAddrA], v[vgprG2LA+0:vgprG2LA+0+3] offset:0 // lwoA_0_0_0_0 = (0*LSCA) + (0*LSPA)(*MT0I+PAD) = 0
v_mfma_f32_16x16x16_f16 a[232+0:235+0], v[vgprValuB_X0_I0+14+0+0:vgprValuB_X0_I0+14+0+0+1], v[vgprValuA_X0_I0+4+0+0:vgprValuA_X0_I0+4+0+0+1], a[232:235]
/*  mfmaIndex:62  */
v_mfma_f32_16x16x16_f16 a[228+0:231+0], v[vgprValuB_X0_I0+14+0+0:vgprValuB_X0_I0+14+0+0+1], v[vgprValuA_X0_I0+2+0+0:vgprValuA_X0_I0+2+0+0+1], a[228:231]
/*  mfmaIndex:63  */
v_mfma_f32_16x16x16_f16 a[224+0:227+0], v[vgprValuB_X0_I0+14+0+0:vgprValuB_X0_I0+14+0+0+1], v[vgprValuA_X0_I0+0+0+0:vgprValuA_X0_I0+0+0+0+1], a[224:227]
/* numPrefetchIter=0 */
/* dataAtIterA=-1 numReadsIterA=1 skipReadsIterA=1 readsPerIterA=8 */
/* dataAtIterB=-1 numReadsIterB=1 skipReadsIterB=1 readsPerIterB=8 */


/* iter 1 */

/*  grEndMfmaIndex:12, lwStartMfmaIndex:61, lwEndMfmaIndex:228  */
/*  numMfmaForLR:22, barrierMfmaIndex:233, LocalWritePerMfma:0.090 */
/*  mfmaIndex:64  */
/* pack scheduling: packAIdx:2, packBIdx:2 */
v_perm_b32 v[vgprValuA_X1_I0+0], v[vgprValuA_X1_I0_D1+0], v[vgprValuA_X1_I0_D0+0], s[sgprPackKForV0] // select K=01 for vector=0
v_perm_b32 v[vgprValuA_X1_I0+1], v[vgprValuA_X1_I0_D3+0], v[vgprValuA_X1_I0_D2+0], s[sgprPackKForV0] // select K=23 for vector=0
v_perm_b32 v[vgprValuB_X1_I0+0], v[vgprValuB_X1_I0_D1+0], v[vgprValuB_X1_I0_D0+0], s[sgprPackKForV0] // select K=01 for vector=0
v_perm_b32 v[vgprValuB_X1_I0+1], v[vgprValuB_X1_I0_D3+0], v[vgprValuB_X1_I0_D2+0], s[sgprPackKForV0] // select K=23 for vector=0
v_perm_b32 v[vgprValuA_X1_I0+2], v[vgprValuA_X1_I0_D1+0], v[vgprValuA_X1_I0_D0+0], s[sgprPackKForV1] // select K=01 for vector=1
v_perm_b32 v[vgprValuA_X1_I0+3], v[vgprValuA_X1_I0_D3+0], v[vgprValuA_X1_I0_D2+0], s[sgprPackKForV1] // select K=23 for vector=1
v_mfma_f32_16x16x16_f16 a[0+0:3+0], v[vgprValuB_X1_I0+0+0+0:vgprValuB_X1_I0+0+0+0+1], v[vgprValuA_X1_I0+0+0+0:vgprValuA_X1_I0+0+0+0+1], a[0:3]
/*  mfmaIndex:65  */
/* pack scheduling: packAIdx:4, packBIdx:2 */
v_perm_b32 v[vgprValuA_X1_I0+4], v[vgprValuA_X1_I0_D1+1], v[vgprValuA_X1_I0_D0+1], s[sgprPackKForV0] // select K=01 for vector=0
v_perm_b32 v[vgprValuA_X1_I0+5], v[vgprValuA_X1_I0_D3+1], v[vgprValuA_X1_I0_D2+1], s[sgprPackKForV0] // select K=23 for vector=0
v_mfma_f32_16x16x16_f16 a[4+0:7+0], v[vgprValuB_X1_I0+0+0+0:vgprValuB_X1_I0+0+0+0+1], v[vgprValuA_X1_I0+2+0+0:vgprValuA_X1_I0+2+0+0+1], a[4:7]
/*  mfmaIndex:66  */
/* pack scheduling: packAIdx:6, packBIdx:2 */
v_perm_b32 v[vgprValuA_X1_I0+6], v[vgprValuA_X1_I0_D1+1], v[vgprValuA_X1_I0_D0+1], s[sgprPackKForV1] // select K=01 for vector=1
v_perm_b32 v[vgprValuA_X1_I0+7], v[vgprValuA_X1_I0_D3+1], v[vgprValuA_X1_I0_D2+1], s[sgprPackKForV1] // select K=23 for vector=1
v_mfma_f32_16x16x16_f16 a[8+0:11+0], v[vgprValuB_X1_I0+0+0+0:vgprValuB_X1_I0+0+0+0+1], v[vgprValuA_X1_I0+4+0+0:vgprValuA_X1_I0+4+0+0+1], a[8:11]
/*  mfmaIndex:67  */
/* pack scheduling: packAIdx:8, packBIdx:2 */
v_perm_b32 v[vgprValuA_X1_I0+8], v[vgprValuA_X1_I0_D1+2], v[vgprValuA_X1_I0_D0+2], s[sgprPackKForV0] // select K=01 for vector=0
v_perm_b32 v[vgprValuA_X1_I0+9], v[vgprValuA_X1_I0_D3+2], v[vgprValuA_X1_I0_D2+2], s[sgprPackKForV0] // select K=23 for vector=0
v_mfma_f32_16x16x16_f16 a[12+0:15+0], v[vgprValuB_X1_I0+0+0+0:vgprValuB_X1_I0+0+0+0+1], v[vgprValuA_X1_I0+6+0+0:vgprValuA_X1_I0+6+0+0+1], a[12:15]
/*  mfmaIndex:68  */
/* pack scheduling: packAIdx:10, packBIdx:2 */
	;; [unrolled: 10-line block ×3, first 2 shown]
v_perm_b32 v[vgprValuA_X1_I0+14], v[vgprValuA_X1_I0_D1+3], v[vgprValuA_X1_I0_D0+3], s[sgprPackKForV1] // select K=01 for vector=1
v_perm_b32 v[vgprValuA_X1_I0+15], v[vgprValuA_X1_I0_D3+3], v[vgprValuA_X1_I0_D2+3], s[sgprPackKForV1] // select K=23 for vector=1
v_mfma_f32_16x16x16_f16 a[24+0:27+0], v[vgprValuB_X1_I0+0+0+0:vgprValuB_X1_I0+0+0+0+1], v[vgprValuA_X1_I0+12+0+0:vgprValuA_X1_I0+12+0+0+1], a[24:27]
/*  mfmaIndex:71  */
/* pack scheduling: packAIdx:16, packBIdx:2 */
v_perm_b32 v[vgprValuB_X1_I0+2], v[vgprValuB_X1_I0_D1+0], v[vgprValuB_X1_I0_D0+0], s[sgprPackKForV1] // select K=01 for vector=1
v_perm_b32 v[vgprValuB_X1_I0+3], v[vgprValuB_X1_I0_D3+0], v[vgprValuB_X1_I0_D2+0], s[sgprPackKForV1] // select K=23 for vector=1
v_mfma_f32_16x16x16_f16 a[28+0:31+0], v[vgprValuB_X1_I0+0+0+0:vgprValuB_X1_I0+0+0+0+1], v[vgprValuA_X1_I0+14+0+0:vgprValuA_X1_I0+14+0+0+1], a[28:31]
/*  mfmaIndex:72  */
/* sched write - iter 1 writesPerItem=1 */
s_waitcnt vmcnt(0)                                 // lgkmcnt=-1 vmcnt=0wait for global read before writing to local
_ds_store_b128 v[vgprLocalWriteAddrA], v[vgprG2LA+4:vgprG2LA+4+3] offset:1024 // lwoA_0_0_1_0 = (0*LSCA) + (1*LSPA)(*MT0I+PAD) = 1024
/* pack scheduling: packAIdx:16, packBIdx:4 */
v_perm_b32 v[vgprValuB_X1_I0+4], v[vgprValuB_X1_I0_D1+1], v[vgprValuB_X1_I0_D0+1], s[sgprPackKForV0] // select K=01 for vector=0
v_perm_b32 v[vgprValuB_X1_I0+5], v[vgprValuB_X1_I0_D3+1], v[vgprValuB_X1_I0_D2+1], s[sgprPackKForV0] // select K=23 for vector=0
v_mfma_f32_16x16x16_f16 a[60+0:63+0], v[vgprValuB_X1_I0+2+0+0:vgprValuB_X1_I0+2+0+0+1], v[vgprValuA_X1_I0+14+0+0:vgprValuA_X1_I0+14+0+0+1], a[60:63]
/*  mfmaIndex:73  */
/* pack scheduling: packAIdx:16, packBIdx:4 */
v_perm_b32 v[vgprValuB_X1_I0+6], v[vgprValuB_X1_I0_D1+1], v[vgprValuB_X1_I0_D0+1], s[sgprPackKForV1] // select K=01 for vector=1
v_perm_b32 v[vgprValuB_X1_I0+7], v[vgprValuB_X1_I0_D3+1], v[vgprValuB_X1_I0_D2+1], s[sgprPackKForV1] // select K=23 for vector=1
v_mfma_f32_16x16x16_f16 a[56+0:59+0], v[vgprValuB_X1_I0+2+0+0:vgprValuB_X1_I0+2+0+0+1], v[vgprValuA_X1_I0+12+0+0:vgprValuA_X1_I0+12+0+0+1], a[56:59]
/*  mfmaIndex:74  */
/* pack scheduling: packAIdx:16, packBIdx:4 */
v_perm_b32 v[vgprValuB_X1_I0+8], v[vgprValuB_X1_I0_D1+2], v[vgprValuB_X1_I0_D0+2], s[sgprPackKForV0] // select K=01 for vector=0
v_perm_b32 v[vgprValuB_X1_I0+9], v[vgprValuB_X1_I0_D3+2], v[vgprValuB_X1_I0_D2+2], s[sgprPackKForV0] // select K=23 for vector=0
v_mfma_f32_16x16x16_f16 a[52+0:55+0], v[vgprValuB_X1_I0+2+0+0:vgprValuB_X1_I0+2+0+0+1], v[vgprValuA_X1_I0+10+0+0:vgprValuA_X1_I0+10+0+0+1], a[52:55]
/*  mfmaIndex:75  */
/* pack scheduling: packAIdx:16, packBIdx:4 */
v_perm_b32 v[vgprValuB_X1_I0+10], v[vgprValuB_X1_I0_D1+2], v[vgprValuB_X1_I0_D0+2], s[sgprPackKForV1] // select K=01 for vector=1
v_perm_b32 v[vgprValuB_X1_I0+11], v[vgprValuB_X1_I0_D3+2], v[vgprValuB_X1_I0_D2+2], s[sgprPackKForV1] // select K=23 for vector=1
v_mfma_f32_16x16x16_f16 a[48+0:51+0], v[vgprValuB_X1_I0+2+0+0:vgprValuB_X1_I0+2+0+0+1], v[vgprValuA_X1_I0+8+0+0:vgprValuA_X1_I0+8+0+0+1], a[48:51]
/*  mfmaIndex:76  */
	;; [unrolled: 10-line block ×3, first 2 shown]
v_mfma_f32_16x16x16_f16 a[36+0:39+0], v[vgprValuB_X1_I0+2+0+0:vgprValuB_X1_I0+2+0+0+1], v[vgprValuA_X1_I0+2+0+0:vgprValuA_X1_I0+2+0+0+1], a[36:39]
/*  mfmaIndex:79  */
v_mfma_f32_16x16x16_f16 a[32+0:35+0], v[vgprValuB_X1_I0+2+0+0:vgprValuB_X1_I0+2+0+0+1], v[vgprValuA_X1_I0+0+0+0:vgprValuA_X1_I0+0+0+0+1], a[32:35]
/*  mfmaIndex:80  */
	;; [unrolled: 2-line block ×5, first 2 shown]
/* sched write - iter 1 writesPerItem=1 */
s_waitcnt vmcnt(0)                                 // lgkmcnt=-1 vmcnt=0wait for global read before writing to local
_ds_store_b128 v[vgprLocalWriteAddrA], v[vgprG2LA+8:vgprG2LA+8+3] offset:2048 // lwoA_0_0_2_0 = (0*LSCA) + (2*LSPA)(*MT0I+PAD) = 2048
v_mfma_f32_16x16x16_f16 a[76+0:79+0], v[vgprValuB_X1_I0+4+0+0:vgprValuB_X1_I0+4+0+0+1], v[vgprValuA_X1_I0+6+0+0:vgprValuA_X1_I0+6+0+0+1], a[76:79]
/*  mfmaIndex:84  */
v_mfma_f32_16x16x16_f16 a[80+0:83+0], v[vgprValuB_X1_I0+4+0+0:vgprValuB_X1_I0+4+0+0+1], v[vgprValuA_X1_I0+8+0+0:vgprValuA_X1_I0+8+0+0+1], a[80:83]
/*  mfmaIndex:85  */
	;; [unrolled: 2-line block ×11, first 2 shown]
/* sched write - iter 1 writesPerItem=1 */
s_waitcnt vmcnt(0)                                 // lgkmcnt=-1 vmcnt=0wait for global read before writing to local
_ds_store_b128 v[vgprLocalWriteAddrA], v[vgprG2LA+12:vgprG2LA+12+3] offset:3072 // lwoA_0_0_3_0 = (0*LSCA) + (3*LSPA)(*MT0I+PAD) = 3072
v_mfma_f32_16x16x16_f16 a[100+0:103+0], v[vgprValuB_X1_I0+6+0+0:vgprValuB_X1_I0+6+0+0+1], v[vgprValuA_X1_I0+2+0+0:vgprValuA_X1_I0+2+0+0+1], a[100:103]
/*  mfmaIndex:95  */
v_mfma_f32_16x16x16_f16 a[96+0:99+0], v[vgprValuB_X1_I0+6+0+0:vgprValuB_X1_I0+6+0+0+1], v[vgprValuA_X1_I0+0+0+0:vgprValuA_X1_I0+0+0+0+1], a[96:99]
/*  mfmaIndex:96  */
	;; [unrolled: 2-line block ×11, first 2 shown]
/* sched write - iter 1 writesPerItem=1 */
s_waitcnt vmcnt(0)                                 // lgkmcnt=-1 vmcnt=0wait for global read before writing to local
_ds_store_b128 v[vgprLocalWriteAddrA], v[vgprG2LA+16:vgprG2LA+16+3] offset:4096 // lwoA_0_0_4_0 = (0*LSCA) + (4*LSPA)(*MT0I+PAD) = 4096
v_mfma_f32_16x16x16_f16 a[184+0:187+0], v[vgprValuB_X1_I0+10+0+0:vgprValuB_X1_I0+10+0+0+1], v[vgprValuA_X1_I0+12+0+0:vgprValuA_X1_I0+12+0+0+1], a[184:187]
/*  mfmaIndex:106  */
v_mfma_f32_16x16x16_f16 a[180+0:183+0], v[vgprValuB_X1_I0+10+0+0:vgprValuB_X1_I0+10+0+0+1], v[vgprValuA_X1_I0+10+0+0:vgprValuA_X1_I0+10+0+0+1], a[180:183]
/*  mfmaIndex:107  */
	;; [unrolled: 2-line block ×11, first 2 shown]
/* sched write - iter 1 writesPerItem=1 */
s_waitcnt vmcnt(0)                                 // lgkmcnt=-1 vmcnt=0wait for global read before writing to local
_ds_store_b128 v[vgprLocalWriteAddrA], v[vgprG2LA+20:vgprG2LA+20+3] offset:5120 // lwoA_0_0_5_0 = (0*LSCA) + (5*LSPA)(*MT0I+PAD) = 5120
v_mfma_f32_16x16x16_f16 a[208+0:211+0], v[vgprValuB_X1_I0+12+0+0:vgprValuB_X1_I0+12+0+0+1], v[vgprValuA_X1_I0+8+0+0:vgprValuA_X1_I0+8+0+0+1], a[208:211]
/*  mfmaIndex:117  */
v_mfma_f32_16x16x16_f16 a[212+0:215+0], v[vgprValuB_X1_I0+12+0+0:vgprValuB_X1_I0+12+0+0+1], v[vgprValuA_X1_I0+10+0+0:vgprValuA_X1_I0+10+0+0+1], a[212:215]
/*  mfmaIndex:118  */
v_mfma_f32_16x16x16_f16 a[216+0:219+0], v[vgprValuB_X1_I0+12+0+0:vgprValuB_X1_I0+12+0+0+1], v[vgprValuA_X1_I0+12+0+0:vgprValuA_X1_I0+12+0+0+1], a[216:219]
/*  mfmaIndex:119  */
v_mfma_f32_16x16x16_f16 a[220+0:223+0], v[vgprValuB_X1_I0+12+0+0:vgprValuB_X1_I0+12+0+0+1], v[vgprValuA_X1_I0+14+0+0:vgprValuA_X1_I0+14+0+0+1], a[220:223]
/*  mfmaIndex:120  */
v_mfma_f32_16x16x16_f16 a[252+0:255+0], v[vgprValuB_X1_I0+14+0+0:vgprValuB_X1_I0+14+0+0+1], v[vgprValuA_X1_I0+14+0+0:vgprValuA_X1_I0+14+0+0+1], a[252:255]
/*  mfmaIndex:121  */
v_mfma_f32_16x16x16_f16 a[248+0:251+0], v[vgprValuB_X1_I0+14+0+0:vgprValuB_X1_I0+14+0+0+1], v[vgprValuA_X1_I0+12+0+0:vgprValuA_X1_I0+12+0+0+1], a[248:251]
/*  mfmaIndex:122  */
v_mfma_f32_16x16x16_f16 a[244+0:247+0], v[vgprValuB_X1_I0+14+0+0:vgprValuB_X1_I0+14+0+0+1], v[vgprValuA_X1_I0+10+0+0:vgprValuA_X1_I0+10+0+0+1], a[244:247]
/*  mfmaIndex:123  */
v_mfma_f32_16x16x16_f16 a[240+0:243+0], v[vgprValuB_X1_I0+14+0+0:vgprValuB_X1_I0+14+0+0+1], v[vgprValuA_X1_I0+8+0+0:vgprValuA_X1_I0+8+0+0+1], a[240:243]
/*  mfmaIndex:124  */
v_mfma_f32_16x16x16_f16 a[236+0:239+0], v[vgprValuB_X1_I0+14+0+0:vgprValuB_X1_I0+14+0+0+1], v[vgprValuA_X1_I0+6+0+0:vgprValuA_X1_I0+6+0+0+1], a[236:239]
/*  mfmaIndex:125  */
v_mfma_f32_16x16x16_f16 a[232+0:235+0], v[vgprValuB_X1_I0+14+0+0:vgprValuB_X1_I0+14+0+0+1], v[vgprValuA_X1_I0+4+0+0:vgprValuA_X1_I0+4+0+0+1], a[232:235]
/*  mfmaIndex:126  */
v_mfma_f32_16x16x16_f16 a[228+0:231+0], v[vgprValuB_X1_I0+14+0+0:vgprValuB_X1_I0+14+0+0+1], v[vgprValuA_X1_I0+2+0+0:vgprValuA_X1_I0+2+0+0+1], a[228:231]
/*  mfmaIndex:127  */
/* sched write - iter 1 writesPerItem=1 */
s_waitcnt vmcnt(0)                                 // lgkmcnt=-1 vmcnt=0wait for global read before writing to local
_ds_store_b128 v[vgprLocalWriteAddrA], v[vgprG2LA+24:vgprG2LA+24+3] offset:6144 // lwoA_0_0_6_0 = (0*LSCA) + (6*LSPA)(*MT0I+PAD) = 6144
v_mfma_f32_16x16x16_f16 a[224+0:227+0], v[vgprValuB_X1_I0+14+0+0:vgprValuB_X1_I0+14+0+0+1], v[vgprValuA_X1_I0+0+0+0:vgprValuA_X1_I0+0+0+0+1], a[224:227]


/* iter 2 (reset local read pointers iteration)  (swap local read pointers iteration)  */

/*  grEndMfmaIndex:12, lwStartMfmaIndex:61, lwEndMfmaIndex:228  */
/*  numMfmaForLR:22, barrierMfmaIndex:233, LocalWritePerMfma:0.090 */
/*  mfmaIndex:128  */
/* pack scheduling: packAIdx:2, packBIdx:2 */
v_perm_b32 v[vgprValuA_X2_I0+0], v[vgprValuA_X2_I0_D1+0], v[vgprValuA_X2_I0_D0+0], s[sgprPackKForV0] // select K=01 for vector=0
v_perm_b32 v[vgprValuA_X2_I0+1], v[vgprValuA_X2_I0_D3+0], v[vgprValuA_X2_I0_D2+0], s[sgprPackKForV0] // select K=23 for vector=0
v_perm_b32 v[vgprValuB_X2_I0+0], v[vgprValuB_X2_I0_D1+0], v[vgprValuB_X2_I0_D0+0], s[sgprPackKForV0] // select K=01 for vector=0
v_perm_b32 v[vgprValuB_X2_I0+1], v[vgprValuB_X2_I0_D3+0], v[vgprValuB_X2_I0_D2+0], s[sgprPackKForV0] // select K=23 for vector=0
v_perm_b32 v[vgprValuA_X2_I0+2], v[vgprValuA_X2_I0_D1+0], v[vgprValuA_X2_I0_D0+0], s[sgprPackKForV1] // select K=01 for vector=1
v_perm_b32 v[vgprValuA_X2_I0+3], v[vgprValuA_X2_I0_D3+0], v[vgprValuA_X2_I0_D2+0], s[sgprPackKForV1] // select K=23 for vector=1
v_mfma_f32_16x16x16_f16 a[0+0:3+0], v[vgprValuB_X2_I0+0+0+0:vgprValuB_X2_I0+0+0+0+1], v[vgprValuA_X2_I0+0+0+0:vgprValuA_X2_I0+0+0+0+1], a[0:3]
/*  mfmaIndex:129  */
/* pack scheduling: packAIdx:4, packBIdx:2 */
v_perm_b32 v[vgprValuA_X2_I0+4], v[vgprValuA_X2_I0_D1+1], v[vgprValuA_X2_I0_D0+1], s[sgprPackKForV0] // select K=01 for vector=0
v_perm_b32 v[vgprValuA_X2_I0+5], v[vgprValuA_X2_I0_D3+1], v[vgprValuA_X2_I0_D2+1], s[sgprPackKForV0] // select K=23 for vector=0
v_mfma_f32_16x16x16_f16 a[4+0:7+0], v[vgprValuB_X2_I0+0+0+0:vgprValuB_X2_I0+0+0+0+1], v[vgprValuA_X2_I0+2+0+0:vgprValuA_X2_I0+2+0+0+1], a[4:7]
/*  mfmaIndex:130  */
/* pack scheduling: packAIdx:6, packBIdx:2 */
v_perm_b32 v[vgprValuA_X2_I0+6], v[vgprValuA_X2_I0_D1+1], v[vgprValuA_X2_I0_D0+1], s[sgprPackKForV1] // select K=01 for vector=1
v_perm_b32 v[vgprValuA_X2_I0+7], v[vgprValuA_X2_I0_D3+1], v[vgprValuA_X2_I0_D2+1], s[sgprPackKForV1] // select K=23 for vector=1
v_mfma_f32_16x16x16_f16 a[8+0:11+0], v[vgprValuB_X2_I0+0+0+0:vgprValuB_X2_I0+0+0+0+1], v[vgprValuA_X2_I0+4+0+0:vgprValuA_X2_I0+4+0+0+1], a[8:11]
/*  mfmaIndex:131  */
/* pack scheduling: packAIdx:8, packBIdx:2 */
v_perm_b32 v[vgprValuA_X2_I0+8], v[vgprValuA_X2_I0_D1+2], v[vgprValuA_X2_I0_D0+2], s[sgprPackKForV0] // select K=01 for vector=0
v_perm_b32 v[vgprValuA_X2_I0+9], v[vgprValuA_X2_I0_D3+2], v[vgprValuA_X2_I0_D2+2], s[sgprPackKForV0] // select K=23 for vector=0
v_mfma_f32_16x16x16_f16 a[12+0:15+0], v[vgprValuB_X2_I0+0+0+0:vgprValuB_X2_I0+0+0+0+1], v[vgprValuA_X2_I0+6+0+0:vgprValuA_X2_I0+6+0+0+1], a[12:15]
/*  mfmaIndex:132  */
/* pack scheduling: packAIdx:10, packBIdx:2 */
	;; [unrolled: 10-line block ×3, first 2 shown]
v_perm_b32 v[vgprValuA_X2_I0+14], v[vgprValuA_X2_I0_D1+3], v[vgprValuA_X2_I0_D0+3], s[sgprPackKForV1] // select K=01 for vector=1
v_perm_b32 v[vgprValuA_X2_I0+15], v[vgprValuA_X2_I0_D3+3], v[vgprValuA_X2_I0_D2+3], s[sgprPackKForV1] // select K=23 for vector=1
v_mfma_f32_16x16x16_f16 a[24+0:27+0], v[vgprValuB_X2_I0+0+0+0:vgprValuB_X2_I0+0+0+0+1], v[vgprValuA_X2_I0+12+0+0:vgprValuA_X2_I0+12+0+0+1], a[24:27]
/*  mfmaIndex:135  */
/* pack scheduling: packAIdx:16, packBIdx:2 */
v_perm_b32 v[vgprValuB_X2_I0+2], v[vgprValuB_X2_I0_D1+0], v[vgprValuB_X2_I0_D0+0], s[sgprPackKForV1] // select K=01 for vector=1
v_perm_b32 v[vgprValuB_X2_I0+3], v[vgprValuB_X2_I0_D3+0], v[vgprValuB_X2_I0_D2+0], s[sgprPackKForV1] // select K=23 for vector=1
v_mfma_f32_16x16x16_f16 a[28+0:31+0], v[vgprValuB_X2_I0+0+0+0:vgprValuB_X2_I0+0+0+0+1], v[vgprValuA_X2_I0+14+0+0:vgprValuA_X2_I0+14+0+0+1], a[28:31]
/*  mfmaIndex:136  */
/* pack scheduling: packAIdx:16, packBIdx:4 */
v_perm_b32 v[vgprValuB_X2_I0+4], v[vgprValuB_X2_I0_D1+1], v[vgprValuB_X2_I0_D0+1], s[sgprPackKForV0] // select K=01 for vector=0
v_perm_b32 v[vgprValuB_X2_I0+5], v[vgprValuB_X2_I0_D3+1], v[vgprValuB_X2_I0_D2+1], s[sgprPackKForV0] // select K=23 for vector=0
v_mfma_f32_16x16x16_f16 a[60+0:63+0], v[vgprValuB_X2_I0+2+0+0:vgprValuB_X2_I0+2+0+0+1], v[vgprValuA_X2_I0+14+0+0:vgprValuA_X2_I0+14+0+0+1], a[60:63]
/*  mfmaIndex:137  */
/* pack scheduling: packAIdx:16, packBIdx:4 */
v_perm_b32 v[vgprValuB_X2_I0+6], v[vgprValuB_X2_I0_D1+1], v[vgprValuB_X2_I0_D0+1], s[sgprPackKForV1] // select K=01 for vector=1
v_perm_b32 v[vgprValuB_X2_I0+7], v[vgprValuB_X2_I0_D3+1], v[vgprValuB_X2_I0_D2+1], s[sgprPackKForV1] // select K=23 for vector=1
v_mfma_f32_16x16x16_f16 a[56+0:59+0], v[vgprValuB_X2_I0+2+0+0:vgprValuB_X2_I0+2+0+0+1], v[vgprValuA_X2_I0+12+0+0:vgprValuA_X2_I0+12+0+0+1], a[56:59]
/*  mfmaIndex:138  */
/* sched write - iter 2 writesPerItem=1 */
s_waitcnt vmcnt(0)                                 // lgkmcnt=-1 vmcnt=0wait for global read before writing to local
_ds_store_b128 v[vgprLocalWriteAddrA], v[vgprG2LA+28:vgprG2LA+28+3] offset:7168 // lwoA_0_0_7_0 = (0*LSCA) + (7*LSPA)(*MT0I+PAD) = 7168
/* pack scheduling: packAIdx:16, packBIdx:4 */
v_perm_b32 v[vgprValuB_X2_I0+8], v[vgprValuB_X2_I0_D1+2], v[vgprValuB_X2_I0_D0+2], s[sgprPackKForV0] // select K=01 for vector=0
v_perm_b32 v[vgprValuB_X2_I0+9], v[vgprValuB_X2_I0_D3+2], v[vgprValuB_X2_I0_D2+2], s[sgprPackKForV0] // select K=23 for vector=0
v_mfma_f32_16x16x16_f16 a[52+0:55+0], v[vgprValuB_X2_I0+2+0+0:vgprValuB_X2_I0+2+0+0+1], v[vgprValuA_X2_I0+10+0+0:vgprValuA_X2_I0+10+0+0+1], a[52:55]
/*  mfmaIndex:139  */
/* pack scheduling: packAIdx:16, packBIdx:4 */
v_perm_b32 v[vgprValuB_X2_I0+10], v[vgprValuB_X2_I0_D1+2], v[vgprValuB_X2_I0_D0+2], s[sgprPackKForV1] // select K=01 for vector=1
v_perm_b32 v[vgprValuB_X2_I0+11], v[vgprValuB_X2_I0_D3+2], v[vgprValuB_X2_I0_D2+2], s[sgprPackKForV1] // select K=23 for vector=1
v_mfma_f32_16x16x16_f16 a[48+0:51+0], v[vgprValuB_X2_I0+2+0+0:vgprValuB_X2_I0+2+0+0+1], v[vgprValuA_X2_I0+8+0+0:vgprValuA_X2_I0+8+0+0+1], a[48:51]
/*  mfmaIndex:140  */
/* pack scheduling: packAIdx:16, packBIdx:4 */
v_perm_b32 v[vgprValuB_X2_I0+12], v[vgprValuB_X2_I0_D1+3], v[vgprValuB_X2_I0_D0+3], s[sgprPackKForV0] // select K=01 for vector=0
v_perm_b32 v[vgprValuB_X2_I0+13], v[vgprValuB_X2_I0_D3+3], v[vgprValuB_X2_I0_D2+3], s[sgprPackKForV0] // select K=23 for vector=0
v_mfma_f32_16x16x16_f16 a[44+0:47+0], v[vgprValuB_X2_I0+2+0+0:vgprValuB_X2_I0+2+0+0+1], v[vgprValuA_X2_I0+6+0+0:vgprValuA_X2_I0+6+0+0+1], a[44:47]
/*  mfmaIndex:141  */
/* pack scheduling: packAIdx:16, packBIdx:4 */
v_perm_b32 v[vgprValuB_X2_I0+14], v[vgprValuB_X2_I0_D1+3], v[vgprValuB_X2_I0_D0+3], s[sgprPackKForV1] // select K=01 for vector=1
v_perm_b32 v[vgprValuB_X2_I0+15], v[vgprValuB_X2_I0_D3+3], v[vgprValuB_X2_I0_D2+3], s[sgprPackKForV1] // select K=23 for vector=1
v_mfma_f32_16x16x16_f16 a[40+0:43+0], v[vgprValuB_X2_I0+2+0+0:vgprValuB_X2_I0+2+0+0+1], v[vgprValuA_X2_I0+4+0+0:vgprValuA_X2_I0+4+0+0+1], a[40:43]
/*  mfmaIndex:142  */
v_mfma_f32_16x16x16_f16 a[36+0:39+0], v[vgprValuB_X2_I0+2+0+0:vgprValuB_X2_I0+2+0+0+1], v[vgprValuA_X2_I0+2+0+0:vgprValuA_X2_I0+2+0+0+1], a[36:39]
/*  mfmaIndex:143  */
	;; [unrolled: 2-line block ×8, first 2 shown]
/* sched write - iter 2 writesPerItem=1 */
s_waitcnt vmcnt(0)                                 // lgkmcnt=-1 vmcnt=0wait for global read before writing to local
_ds_store_b128 v[vgprLocalWriteAddrB], v[vgprG2LB+0:vgprG2LB+0+3] offset:0 // lwoB_0_0_0_0 = (0*LSCB) + (0*LSPB)(*MT1J+PAD) = 0
v_mfma_f32_16x16x16_f16 a[84+0:87+0], v[vgprValuB_X2_I0+4+0+0:vgprValuB_X2_I0+4+0+0+1], v[vgprValuA_X2_I0+10+0+0:vgprValuA_X2_I0+10+0+0+1], a[84:87]
/*  mfmaIndex:150  */
v_mfma_f32_16x16x16_f16 a[88+0:91+0], v[vgprValuB_X2_I0+4+0+0:vgprValuB_X2_I0+4+0+0+1], v[vgprValuA_X2_I0+12+0+0:vgprValuA_X2_I0+12+0+0+1], a[88:91]
/*  mfmaIndex:151  */
	;; [unrolled: 2-line block ×12, first 2 shown]
/* sched write - iter 2 writesPerItem=1 */
s_waitcnt vmcnt(0)                                 // lgkmcnt=-1 vmcnt=0wait for global read before writing to local
_ds_store_b128 v[vgprLocalWriteAddrB], v[vgprG2LB+4:vgprG2LB+4+3] offset:1024 // lwoB_0_0_1_0 = (0*LSCB) + (1*LSPB)(*MT1J+PAD) = 1024
v_mfma_f32_16x16x16_f16 a[132+0:135+0], v[vgprValuB_X2_I0+8+0+0:vgprValuB_X2_I0+8+0+0+1], v[vgprValuA_X2_I0+2+0+0:vgprValuA_X2_I0+2+0+0+1], a[132:135]
/*  mfmaIndex:162  */
v_mfma_f32_16x16x16_f16 a[136+0:139+0], v[vgprValuB_X2_I0+8+0+0:vgprValuB_X2_I0+8+0+0+1], v[vgprValuA_X2_I0+4+0+0:vgprValuA_X2_I0+4+0+0+1], a[136:139]
/*  mfmaIndex:163  */
	;; [unrolled: 2-line block ×11, first 2 shown]
/* sched write - iter 2 writesPerItem=1 */
s_waitcnt vmcnt(0)                                 // lgkmcnt=-1 vmcnt=0wait for global read before writing to local
_ds_store_b128 v[vgprLocalWriteAddrB], v[vgprG2LB+8:vgprG2LB+8+3] offset:2048 // lwoB_0_0_2_0 = (0*LSCB) + (2*LSPB)(*MT1J+PAD) = 2048
v_mfma_f32_16x16x16_f16 a[172+0:175+0], v[vgprValuB_X2_I0+10+0+0:vgprValuB_X2_I0+10+0+0+1], v[vgprValuA_X2_I0+6+0+0:vgprValuA_X2_I0+6+0+0+1], a[172:175]
/*  mfmaIndex:173  */
v_mfma_f32_16x16x16_f16 a[168+0:171+0], v[vgprValuB_X2_I0+10+0+0:vgprValuB_X2_I0+10+0+0+1], v[vgprValuA_X2_I0+4+0+0:vgprValuA_X2_I0+4+0+0+1], a[168:171]
/*  mfmaIndex:174  */
v_mfma_f32_16x16x16_f16 a[164+0:167+0], v[vgprValuB_X2_I0+10+0+0:vgprValuB_X2_I0+10+0+0+1], v[vgprValuA_X2_I0+2+0+0:vgprValuA_X2_I0+2+0+0+1], a[164:167]
/*  mfmaIndex:175  */
v_mfma_f32_16x16x16_f16 a[160+0:163+0], v[vgprValuB_X2_I0+10+0+0:vgprValuB_X2_I0+10+0+0+1], v[vgprValuA_X2_I0+0+0+0:vgprValuA_X2_I0+0+0+0+1], a[160:163]
/*  mfmaIndex:176  */
v_mfma_f32_16x16x16_f16 a[192+0:195+0], v[vgprValuB_X2_I0+12+0+0:vgprValuB_X2_I0+12+0+0+1], v[vgprValuA_X2_I0+0+0+0:vgprValuA_X2_I0+0+0+0+1], a[192:195]
/*  mfmaIndex:177  */
v_mfma_f32_16x16x16_f16 a[196+0:199+0], v[vgprValuB_X2_I0+12+0+0:vgprValuB_X2_I0+12+0+0+1], v[vgprValuA_X2_I0+2+0+0:vgprValuA_X2_I0+2+0+0+1], a[196:199]
/*  mfmaIndex:178  */
v_mfma_f32_16x16x16_f16 a[200+0:203+0], v[vgprValuB_X2_I0+12+0+0:vgprValuB_X2_I0+12+0+0+1], v[vgprValuA_X2_I0+4+0+0:vgprValuA_X2_I0+4+0+0+1], a[200:203]
/*  mfmaIndex:179  */
v_mfma_f32_16x16x16_f16 a[204+0:207+0], v[vgprValuB_X2_I0+12+0+0:vgprValuB_X2_I0+12+0+0+1], v[vgprValuA_X2_I0+6+0+0:vgprValuA_X2_I0+6+0+0+1], a[204:207]
/*  mfmaIndex:180  */
v_mfma_f32_16x16x16_f16 a[208+0:211+0], v[vgprValuB_X2_I0+12+0+0:vgprValuB_X2_I0+12+0+0+1], v[vgprValuA_X2_I0+8+0+0:vgprValuA_X2_I0+8+0+0+1], a[208:211]
/*  mfmaIndex:181  */
v_mfma_f32_16x16x16_f16 a[212+0:215+0], v[vgprValuB_X2_I0+12+0+0:vgprValuB_X2_I0+12+0+0+1], v[vgprValuA_X2_I0+10+0+0:vgprValuA_X2_I0+10+0+0+1], a[212:215]
/*  mfmaIndex:182  */
v_mfma_f32_16x16x16_f16 a[216+0:219+0], v[vgprValuB_X2_I0+12+0+0:vgprValuB_X2_I0+12+0+0+1], v[vgprValuA_X2_I0+12+0+0:vgprValuA_X2_I0+12+0+0+1], a[216:219]
/*  mfmaIndex:183  */
/* sched write - iter 2 writesPerItem=1 */
s_waitcnt vmcnt(0)                                 // lgkmcnt=-1 vmcnt=0wait for global read before writing to local
_ds_store_b128 v[vgprLocalWriteAddrB], v[vgprG2LB+12:vgprG2LB+12+3] offset:3072 // lwoB_0_0_3_0 = (0*LSCB) + (3*LSPB)(*MT1J+PAD) = 3072
v_mfma_f32_16x16x16_f16 a[220+0:223+0], v[vgprValuB_X2_I0+12+0+0:vgprValuB_X2_I0+12+0+0+1], v[vgprValuA_X2_I0+14+0+0:vgprValuA_X2_I0+14+0+0+1], a[220:223]
/*  mfmaIndex:184  */
v_mfma_f32_16x16x16_f16 a[252+0:255+0], v[vgprValuB_X2_I0+14+0+0:vgprValuB_X2_I0+14+0+0+1], v[vgprValuA_X2_I0+14+0+0:vgprValuA_X2_I0+14+0+0+1], a[252:255]
/*  mfmaIndex:185  */
	;; [unrolled: 2-line block ×8, first 2 shown]

/* local read swap offsets a */

/* local read swap offsets b */

/* local read init pointers a */

/* localReadInitPointers */

/* local read init pointers b */

/* localReadInitPointers */
v_mfma_f32_16x16x16_f16 a[224+0:227+0], v[vgprValuB_X2_I0+14+0+0:vgprValuB_X2_I0+14+0+0+1], v[vgprValuA_X2_I0+0+0+0:vgprValuA_X2_I0+0+0+0+1], a[224:227]


/* iter 3 (swap and reset local write pointers iteration)  */

/*  grEndMfmaIndex:12, lwStartMfmaIndex:61, lwEndMfmaIndex:228  */
/*  numMfmaForLR:22, barrierMfmaIndex:233, LocalWritePerMfma:0.090 */
/*  mfmaIndex:192  */
/* pack scheduling: packAIdx:2, packBIdx:2 */
v_perm_b32 v[vgprValuA_X3_I0+0], v[vgprValuA_X3_I0_D1+0], v[vgprValuA_X3_I0_D0+0], s[sgprPackKForV0] // select K=01 for vector=0
v_perm_b32 v[vgprValuA_X3_I0+1], v[vgprValuA_X3_I0_D3+0], v[vgprValuA_X3_I0_D2+0], s[sgprPackKForV0] // select K=23 for vector=0
v_perm_b32 v[vgprValuB_X3_I0+0], v[vgprValuB_X3_I0_D1+0], v[vgprValuB_X3_I0_D0+0], s[sgprPackKForV0] // select K=01 for vector=0
v_perm_b32 v[vgprValuB_X3_I0+1], v[vgprValuB_X3_I0_D3+0], v[vgprValuB_X3_I0_D2+0], s[sgprPackKForV0] // select K=23 for vector=0
v_perm_b32 v[vgprValuA_X3_I0+2], v[vgprValuA_X3_I0_D1+0], v[vgprValuA_X3_I0_D0+0], s[sgprPackKForV1] // select K=01 for vector=1
v_perm_b32 v[vgprValuA_X3_I0+3], v[vgprValuA_X3_I0_D3+0], v[vgprValuA_X3_I0_D2+0], s[sgprPackKForV1] // select K=23 for vector=1
v_mfma_f32_16x16x16_f16 a[0+0:3+0], v[vgprValuB_X3_I0+0+0+0:vgprValuB_X3_I0+0+0+0+1], v[vgprValuA_X3_I0+0+0+0:vgprValuA_X3_I0+0+0+0+1], a[0:3]
/*  mfmaIndex:193  */
/* pack scheduling: packAIdx:4, packBIdx:2 */
v_perm_b32 v[vgprValuA_X3_I0+4], v[vgprValuA_X3_I0_D1+1], v[vgprValuA_X3_I0_D0+1], s[sgprPackKForV0] // select K=01 for vector=0
v_perm_b32 v[vgprValuA_X3_I0+5], v[vgprValuA_X3_I0_D3+1], v[vgprValuA_X3_I0_D2+1], s[sgprPackKForV0] // select K=23 for vector=0
v_mfma_f32_16x16x16_f16 a[4+0:7+0], v[vgprValuB_X3_I0+0+0+0:vgprValuB_X3_I0+0+0+0+1], v[vgprValuA_X3_I0+2+0+0:vgprValuA_X3_I0+2+0+0+1], a[4:7]
/*  mfmaIndex:194  */
/* sched write - iter 3 writesPerItem=1 */
s_waitcnt vmcnt(0)                                 // lgkmcnt=-1 vmcnt=0wait for global read before writing to local
_ds_store_b128 v[vgprLocalWriteAddrB], v[vgprG2LB+16:vgprG2LB+16+3] offset:4096 // lwoB_0_0_4_0 = (0*LSCB) + (4*LSPB)(*MT1J+PAD) = 4096
/* pack scheduling: packAIdx:6, packBIdx:2 */
v_perm_b32 v[vgprValuA_X3_I0+6], v[vgprValuA_X3_I0_D1+1], v[vgprValuA_X3_I0_D0+1], s[sgprPackKForV1] // select K=01 for vector=1
v_perm_b32 v[vgprValuA_X3_I0+7], v[vgprValuA_X3_I0_D3+1], v[vgprValuA_X3_I0_D2+1], s[sgprPackKForV1] // select K=23 for vector=1
v_mfma_f32_16x16x16_f16 a[8+0:11+0], v[vgprValuB_X3_I0+0+0+0:vgprValuB_X3_I0+0+0+0+1], v[vgprValuA_X3_I0+4+0+0:vgprValuA_X3_I0+4+0+0+1], a[8:11]
/*  mfmaIndex:195  */
/* pack scheduling: packAIdx:8, packBIdx:2 */
v_perm_b32 v[vgprValuA_X3_I0+8], v[vgprValuA_X3_I0_D1+2], v[vgprValuA_X3_I0_D0+2], s[sgprPackKForV0] // select K=01 for vector=0
v_perm_b32 v[vgprValuA_X3_I0+9], v[vgprValuA_X3_I0_D3+2], v[vgprValuA_X3_I0_D2+2], s[sgprPackKForV0] // select K=23 for vector=0
v_mfma_f32_16x16x16_f16 a[12+0:15+0], v[vgprValuB_X3_I0+0+0+0:vgprValuB_X3_I0+0+0+0+1], v[vgprValuA_X3_I0+6+0+0:vgprValuA_X3_I0+6+0+0+1], a[12:15]
/*  mfmaIndex:196  */
/* pack scheduling: packAIdx:10, packBIdx:2 */
v_perm_b32 v[vgprValuA_X3_I0+10], v[vgprValuA_X3_I0_D1+2], v[vgprValuA_X3_I0_D0+2], s[sgprPackKForV1] // select K=01 for vector=1
v_perm_b32 v[vgprValuA_X3_I0+11], v[vgprValuA_X3_I0_D3+2], v[vgprValuA_X3_I0_D2+2], s[sgprPackKForV1] // select K=23 for vector=1
v_mfma_f32_16x16x16_f16 a[16+0:19+0], v[vgprValuB_X3_I0+0+0+0:vgprValuB_X3_I0+0+0+0+1], v[vgprValuA_X3_I0+8+0+0:vgprValuA_X3_I0+8+0+0+1], a[16:19]
/*  mfmaIndex:197  */
/* pack scheduling: packAIdx:12, packBIdx:2 */
v_perm_b32 v[vgprValuA_X3_I0+12], v[vgprValuA_X3_I0_D1+3], v[vgprValuA_X3_I0_D0+3], s[sgprPackKForV0] // select K=01 for vector=0
v_perm_b32 v[vgprValuA_X3_I0+13], v[vgprValuA_X3_I0_D3+3], v[vgprValuA_X3_I0_D2+3], s[sgprPackKForV0] // select K=23 for vector=0
v_mfma_f32_16x16x16_f16 a[20+0:23+0], v[vgprValuB_X3_I0+0+0+0:vgprValuB_X3_I0+0+0+0+1], v[vgprValuA_X3_I0+10+0+0:vgprValuA_X3_I0+10+0+0+1], a[20:23]
/*  mfmaIndex:198  */
/* pack scheduling: packAIdx:14, packBIdx:2 */
v_perm_b32 v[vgprValuA_X3_I0+14], v[vgprValuA_X3_I0_D1+3], v[vgprValuA_X3_I0_D0+3], s[sgprPackKForV1] // select K=01 for vector=1
v_perm_b32 v[vgprValuA_X3_I0+15], v[vgprValuA_X3_I0_D3+3], v[vgprValuA_X3_I0_D2+3], s[sgprPackKForV1] // select K=23 for vector=1
v_mfma_f32_16x16x16_f16 a[24+0:27+0], v[vgprValuB_X3_I0+0+0+0:vgprValuB_X3_I0+0+0+0+1], v[vgprValuA_X3_I0+12+0+0:vgprValuA_X3_I0+12+0+0+1], a[24:27]
/*  mfmaIndex:199  */
/* pack scheduling: packAIdx:16, packBIdx:2 */
v_perm_b32 v[vgprValuB_X3_I0+2], v[vgprValuB_X3_I0_D1+0], v[vgprValuB_X3_I0_D0+0], s[sgprPackKForV1] // select K=01 for vector=1
v_perm_b32 v[vgprValuB_X3_I0+3], v[vgprValuB_X3_I0_D3+0], v[vgprValuB_X3_I0_D2+0], s[sgprPackKForV1] // select K=23 for vector=1
v_mfma_f32_16x16x16_f16 a[28+0:31+0], v[vgprValuB_X3_I0+0+0+0:vgprValuB_X3_I0+0+0+0+1], v[vgprValuA_X3_I0+14+0+0:vgprValuA_X3_I0+14+0+0+1], a[28:31]
/*  mfmaIndex:200  */
/* pack scheduling: packAIdx:16, packBIdx:4 */
v_perm_b32 v[vgprValuB_X3_I0+4], v[vgprValuB_X3_I0_D1+1], v[vgprValuB_X3_I0_D0+1], s[sgprPackKForV0] // select K=01 for vector=0
v_perm_b32 v[vgprValuB_X3_I0+5], v[vgprValuB_X3_I0_D3+1], v[vgprValuB_X3_I0_D2+1], s[sgprPackKForV0] // select K=23 for vector=0
v_mfma_f32_16x16x16_f16 a[60+0:63+0], v[vgprValuB_X3_I0+2+0+0:vgprValuB_X3_I0+2+0+0+1], v[vgprValuA_X3_I0+14+0+0:vgprValuA_X3_I0+14+0+0+1], a[60:63]
/*  mfmaIndex:201  */
/* pack scheduling: packAIdx:16, packBIdx:4 */
v_perm_b32 v[vgprValuB_X3_I0+6], v[vgprValuB_X3_I0_D1+1], v[vgprValuB_X3_I0_D0+1], s[sgprPackKForV1] // select K=01 for vector=1
v_perm_b32 v[vgprValuB_X3_I0+7], v[vgprValuB_X3_I0_D3+1], v[vgprValuB_X3_I0_D2+1], s[sgprPackKForV1] // select K=23 for vector=1
v_mfma_f32_16x16x16_f16 a[56+0:59+0], v[vgprValuB_X3_I0+2+0+0:vgprValuB_X3_I0+2+0+0+1], v[vgprValuA_X3_I0+12+0+0:vgprValuA_X3_I0+12+0+0+1], a[56:59]
/*  mfmaIndex:202  */
/* pack scheduling: packAIdx:16, packBIdx:4 */
v_perm_b32 v[vgprValuB_X3_I0+8], v[vgprValuB_X3_I0_D1+2], v[vgprValuB_X3_I0_D0+2], s[sgprPackKForV0] // select K=01 for vector=0
v_perm_b32 v[vgprValuB_X3_I0+9], v[vgprValuB_X3_I0_D3+2], v[vgprValuB_X3_I0_D2+2], s[sgprPackKForV0] // select K=23 for vector=0
	;; [unrolled: 10-line block ×3, first 2 shown]
v_mfma_f32_16x16x16_f16 a[44+0:47+0], v[vgprValuB_X3_I0+2+0+0:vgprValuB_X3_I0+2+0+0+1], v[vgprValuA_X3_I0+6+0+0:vgprValuA_X3_I0+6+0+0+1], a[44:47]
/*  mfmaIndex:205  */
/* sched write - iter 3 writesPerItem=1 */
s_waitcnt vmcnt(0)                                 // lgkmcnt=-1 vmcnt=0wait for global read before writing to local
_ds_store_b128 v[vgprLocalWriteAddrB], v[vgprG2LB+20:vgprG2LB+20+3] offset:5120 // lwoB_0_0_5_0 = (0*LSCB) + (5*LSPB)(*MT1J+PAD) = 5120
/* pack scheduling: packAIdx:16, packBIdx:4 */
v_perm_b32 v[vgprValuB_X3_I0+14], v[vgprValuB_X3_I0_D1+3], v[vgprValuB_X3_I0_D0+3], s[sgprPackKForV1] // select K=01 for vector=1
v_perm_b32 v[vgprValuB_X3_I0+15], v[vgprValuB_X3_I0_D3+3], v[vgprValuB_X3_I0_D2+3], s[sgprPackKForV1] // select K=23 for vector=1
v_mfma_f32_16x16x16_f16 a[40+0:43+0], v[vgprValuB_X3_I0+2+0+0:vgprValuB_X3_I0+2+0+0+1], v[vgprValuA_X3_I0+4+0+0:vgprValuA_X3_I0+4+0+0+1], a[40:43]
/*  mfmaIndex:206  */
v_mfma_f32_16x16x16_f16 a[36+0:39+0], v[vgprValuB_X3_I0+2+0+0:vgprValuB_X3_I0+2+0+0+1], v[vgprValuA_X3_I0+2+0+0:vgprValuA_X3_I0+2+0+0+1], a[36:39]
/*  mfmaIndex:207  */
	;; [unrolled: 2-line block ×11, first 2 shown]
/* sched write - iter 3 writesPerItem=1 */
s_waitcnt vmcnt(0)                                 // lgkmcnt=-1 vmcnt=0wait for global read before writing to local
_ds_store_b128 v[vgprLocalWriteAddrB], v[vgprG2LB+24:vgprG2LB+24+3] offset:6144 // lwoB_0_0_6_0 = (0*LSCB) + (6*LSPB)(*MT1J+PAD) = 6144
v_mfma_f32_16x16x16_f16 a[124+0:127+0], v[vgprValuB_X3_I0+6+0+0:vgprValuB_X3_I0+6+0+0+1], v[vgprValuA_X3_I0+14+0+0:vgprValuA_X3_I0+14+0+0+1], a[124:127]
/*  mfmaIndex:217  */
v_mfma_f32_16x16x16_f16 a[120+0:123+0], v[vgprValuB_X3_I0+6+0+0:vgprValuB_X3_I0+6+0+0+1], v[vgprValuA_X3_I0+12+0+0:vgprValuA_X3_I0+12+0+0+1], a[120:123]
/*  mfmaIndex:218  */
	;; [unrolled: 2-line block ×11, first 2 shown]
/* sched write - iter 3 writesPerItem=1 */
s_waitcnt vmcnt(0)                                 // lgkmcnt=-1 vmcnt=0wait for global read before writing to local
_ds_store_b128 v[vgprLocalWriteAddrB], v[vgprG2LB+28:vgprG2LB+28+3] offset:7168 // lwoB_0_0_7_0 = (0*LSCB) + (7*LSPB)(*MT1J+PAD) = 7168
v_mfma_f32_16x16x16_f16 a[140+0:143+0], v[vgprValuB_X3_I0+8+0+0:vgprValuB_X3_I0+8+0+0+1], v[vgprValuA_X3_I0+6+0+0:vgprValuA_X3_I0+6+0+0+1], a[140:143]
/*  mfmaIndex:228  */

/* local write swap offsets a */

/* local write swap offsets b */
v_mfma_f32_16x16x16_f16 a[144+0:147+0], v[vgprValuB_X3_I0+8+0+0:vgprValuB_X3_I0+8+0+0+1], v[vgprValuA_X3_I0+8+0+0:vgprValuA_X3_I0+8+0+0+1], a[144:147]
/*  mfmaIndex:229  */
v_mfma_f32_16x16x16_f16 a[148+0:151+0], v[vgprValuB_X3_I0+8+0+0:vgprValuB_X3_I0+8+0+0+1], v[vgprValuA_X3_I0+10+0+0:vgprValuA_X3_I0+10+0+0+1], a[148:151]
/*  mfmaIndex:230  */
v_mfma_f32_16x16x16_f16 a[152+0:155+0], v[vgprValuB_X3_I0+8+0+0:vgprValuB_X3_I0+8+0+0+1], v[vgprValuA_X3_I0+12+0+0:vgprValuA_X3_I0+12+0+0+1], a[152:155]
/*  mfmaIndex:231  */
v_mfma_f32_16x16x16_f16 a[156+0:159+0], v[vgprValuB_X3_I0+8+0+0:vgprValuB_X3_I0+8+0+0+1], v[vgprValuA_X3_I0+14+0+0:vgprValuA_X3_I0+14+0+0+1], a[156:159]
/*  mfmaIndex:232  */
v_mfma_f32_16x16x16_f16 a[188+0:191+0], v[vgprValuB_X3_I0+10+0+0:vgprValuB_X3_I0+10+0+0+1], v[vgprValuA_X3_I0+14+0+0:vgprValuA_X3_I0+14+0+0+1], a[188:191]
s_setprio 0                                        // store optimization
/*  mfmaIndex:233  */
s_waitcnt lgkmcnt(0)                               // lgkmcnt=0 vmcnt=-13wait for local write
// Skip force waitcnt0
s_barrier //
v_mfma_f32_16x16x16_f16 a[184+0:187+0], v[vgprValuB_X3_I0+10+0+0:vgprValuB_X3_I0+10+0+0+1], v[vgprValuA_X3_I0+12+0+0:vgprValuA_X3_I0+12+0+0+1], a[184:187]
/*  mfmaIndex:234  */
s_setprio 3                                        // store optimization
_ds_load_b64 v[vgprValuA_X0_I0_D0+0:vgprValuA_X0_I0_D0+0+1], v[vgprLocalReadAddrA] offset:0 // L -> Reg lro=0 swapByteOffset=0 ti=128 vIdx=0 rIdx=0 oIdx=0 buffer=0 iui=0
v_mfma_f32_16x16x16_f16 a[180+0:183+0], v[vgprValuB_X3_I0+10+0+0:vgprValuB_X3_I0+10+0+0+1], v[vgprValuA_X3_I0+10+0+0:vgprValuA_X3_I0+10+0+0+1], a[180:183]
/*  mfmaIndex:235  */
_ds_load_b64 v[vgprValuA_X0_I0_D1+0:vgprValuA_X0_I0_D1+0+1], v[vgprLocalReadAddrA] offset:512 // L -> Reg lro=0 swapByteOffset=0 ti=128 vIdx=0 rIdx=1 oIdx=0 buffer=0 iui=0
v_mfma_f32_16x16x16_f16 a[176+0:179+0], v[vgprValuB_X3_I0+10+0+0:vgprValuB_X3_I0+10+0+0+1], v[vgprValuA_X3_I0+8+0+0:vgprValuA_X3_I0+8+0+0+1], a[176:179]
/*  mfmaIndex:236  */
_ds_load_b64 v[vgprValuA_X0_I0_D2+0:vgprValuA_X0_I0_D2+0+1], v[vgprLocalReadAddrA] offset:1024 // L -> Reg lro=0 swapByteOffset=0 ti=128 vIdx=0 rIdx=2 oIdx=0 buffer=0 iui=0
v_mfma_f32_16x16x16_f16 a[172+0:175+0], v[vgprValuB_X3_I0+10+0+0:vgprValuB_X3_I0+10+0+0+1], v[vgprValuA_X3_I0+6+0+0:vgprValuA_X3_I0+6+0+0+1], a[172:175]
/*  mfmaIndex:237  */
_ds_load_b64 v[vgprValuA_X0_I0_D3+0:vgprValuA_X0_I0_D3+0+1], v[vgprLocalReadAddrA] offset:1536 // L -> Reg lro=0 swapByteOffset=0 ti=128 vIdx=0 rIdx=3 oIdx=0 buffer=0 iui=0
v_mfma_f32_16x16x16_f16 a[168+0:171+0], v[vgprValuB_X3_I0+10+0+0:vgprValuB_X3_I0+10+0+0+1], v[vgprValuA_X3_I0+4+0+0:vgprValuA_X3_I0+4+0+0+1], a[168:171]
/*  mfmaIndex:238  */
_ds_load_b64 v[vgprValuB_X0_I0_D0+0:vgprValuB_X0_I0_D0+0+1], v[vgprLocalReadAddrB] offset:0 // L -> Reg lro=0 swapByteOffset=0 ti=128 vIdx=0 rIdx=0 oIdx=0 buffer=0 iui=0
v_mfma_f32_16x16x16_f16 a[164+0:167+0], v[vgprValuB_X3_I0+10+0+0:vgprValuB_X3_I0+10+0+0+1], v[vgprValuA_X3_I0+2+0+0:vgprValuA_X3_I0+2+0+0+1], a[164:167]
/*  mfmaIndex:239  */
_ds_load_b64 v[vgprValuB_X0_I0_D1+0:vgprValuB_X0_I0_D1+0+1], v[vgprLocalReadAddrB] offset:512 // L -> Reg lro=0 swapByteOffset=0 ti=128 vIdx=0 rIdx=1 oIdx=0 buffer=0 iui=0
v_mfma_f32_16x16x16_f16 a[160+0:163+0], v[vgprValuB_X3_I0+10+0+0:vgprValuB_X3_I0+10+0+0+1], v[vgprValuA_X3_I0+0+0+0:vgprValuA_X3_I0+0+0+0+1], a[160:163]
/*  mfmaIndex:240  */
_ds_load_b64 v[vgprValuB_X0_I0_D2+0:vgprValuB_X0_I0_D2+0+1], v[vgprLocalReadAddrB] offset:1024 // L -> Reg lro=0 swapByteOffset=0 ti=128 vIdx=0 rIdx=2 oIdx=0 buffer=0 iui=0
v_mfma_f32_16x16x16_f16 a[192+0:195+0], v[vgprValuB_X3_I0+12+0+0:vgprValuB_X3_I0+12+0+0+1], v[vgprValuA_X3_I0+0+0+0:vgprValuA_X3_I0+0+0+0+1], a[192:195]
/*  mfmaIndex:241  */
_ds_load_b64 v[vgprValuB_X0_I0_D3+0:vgprValuB_X0_I0_D3+0+1], v[vgprLocalReadAddrB] offset:1536 // L -> Reg lro=0 swapByteOffset=0 ti=128 vIdx=0 rIdx=3 oIdx=0 buffer=0 iui=0
v_mfma_f32_16x16x16_f16 a[196+0:199+0], v[vgprValuB_X3_I0+12+0+0:vgprValuB_X3_I0+12+0+0+1], v[vgprValuA_X3_I0+2+0+0:vgprValuA_X3_I0+2+0+0+1], a[196:199]
/*  mfmaIndex:242  */
_ds_load_b64 v[vgprValuA_X0_I0_D0+2:vgprValuA_X0_I0_D0+2+1], v[vgprLocalReadAddrA] offset:256 // L -> Reg lro=0 swapByteOffset=0 ti=128 vIdx=1 rIdx=0 oIdx=0 buffer=0 iui=0
v_mfma_f32_16x16x16_f16 a[200+0:203+0], v[vgprValuB_X3_I0+12+0+0:vgprValuB_X3_I0+12+0+0+1], v[vgprValuA_X3_I0+4+0+0:vgprValuA_X3_I0+4+0+0+1], a[200:203]
/*  mfmaIndex:243  */
_ds_load_b64 v[vgprValuA_X0_I0_D1+2:vgprValuA_X0_I0_D1+2+1], v[vgprLocalReadAddrA] offset:768 // L -> Reg lro=0 swapByteOffset=0 ti=128 vIdx=1 rIdx=1 oIdx=0 buffer=0 iui=0
v_mfma_f32_16x16x16_f16 a[204+0:207+0], v[vgprValuB_X3_I0+12+0+0:vgprValuB_X3_I0+12+0+0+1], v[vgprValuA_X3_I0+6+0+0:vgprValuA_X3_I0+6+0+0+1], a[204:207]
/*  mfmaIndex:244  */
_ds_load_b64 v[vgprValuA_X0_I0_D2+2:vgprValuA_X0_I0_D2+2+1], v[vgprLocalReadAddrA] offset:1280 // L -> Reg lro=0 swapByteOffset=0 ti=128 vIdx=1 rIdx=2 oIdx=0 buffer=0 iui=0
v_mfma_f32_16x16x16_f16 a[208+0:211+0], v[vgprValuB_X3_I0+12+0+0:vgprValuB_X3_I0+12+0+0+1], v[vgprValuA_X3_I0+8+0+0:vgprValuA_X3_I0+8+0+0+1], a[208:211]
/*  mfmaIndex:245  */
_ds_load_b64 v[vgprValuA_X0_I0_D3+2:vgprValuA_X0_I0_D3+2+1], v[vgprLocalReadAddrA] offset:1792 // L -> Reg lro=0 swapByteOffset=0 ti=128 vIdx=1 rIdx=3 oIdx=0 buffer=0 iui=0
v_mfma_f32_16x16x16_f16 a[212+0:215+0], v[vgprValuB_X3_I0+12+0+0:vgprValuB_X3_I0+12+0+0+1], v[vgprValuA_X3_I0+10+0+0:vgprValuA_X3_I0+10+0+0+1], a[212:215]
/*  mfmaIndex:246  */
_ds_load_b64 v[vgprValuB_X0_I0_D0+2:vgprValuB_X0_I0_D0+2+1], v[vgprLocalReadAddrB] offset:256 // L -> Reg lro=0 swapByteOffset=0 ti=128 vIdx=1 rIdx=0 oIdx=0 buffer=0 iui=0
v_mfma_f32_16x16x16_f16 a[216+0:219+0], v[vgprValuB_X3_I0+12+0+0:vgprValuB_X3_I0+12+0+0+1], v[vgprValuA_X3_I0+12+0+0:vgprValuA_X3_I0+12+0+0+1], a[216:219]
/*  mfmaIndex:247  */
_ds_load_b64 v[vgprValuB_X0_I0_D1+2:vgprValuB_X0_I0_D1+2+1], v[vgprLocalReadAddrB] offset:768 // L -> Reg lro=0 swapByteOffset=0 ti=128 vIdx=1 rIdx=1 oIdx=0 buffer=0 iui=0
v_mfma_f32_16x16x16_f16 a[220+0:223+0], v[vgprValuB_X3_I0+12+0+0:vgprValuB_X3_I0+12+0+0+1], v[vgprValuA_X3_I0+14+0+0:vgprValuA_X3_I0+14+0+0+1], a[220:223]
/*  mfmaIndex:248  */
_ds_load_b64 v[vgprValuB_X0_I0_D2+2:vgprValuB_X0_I0_D2+2+1], v[vgprLocalReadAddrB] offset:1280 // L -> Reg lro=0 swapByteOffset=0 ti=128 vIdx=1 rIdx=2 oIdx=0 buffer=0 iui=0
v_mfma_f32_16x16x16_f16 a[252+0:255+0], v[vgprValuB_X3_I0+14+0+0:vgprValuB_X3_I0+14+0+0+1], v[vgprValuA_X3_I0+14+0+0:vgprValuA_X3_I0+14+0+0+1], a[252:255]
/*  mfmaIndex:249  */
_ds_load_b64 v[vgprValuB_X0_I0_D3+2:vgprValuB_X0_I0_D3+2+1], v[vgprLocalReadAddrB] offset:1792 // L -> Reg lro=0 swapByteOffset=0 ti=128 vIdx=1 rIdx=3 oIdx=0 buffer=0 iui=0
v_mfma_f32_16x16x16_f16 a[248+0:251+0], v[vgprValuB_X3_I0+14+0+0:vgprValuB_X3_I0+14+0+0+1], v[vgprValuA_X3_I0+12+0+0:vgprValuA_X3_I0+12+0+0+1], a[248:251]
/*  mfmaIndex:250  */
v_mfma_f32_16x16x16_f16 a[244+0:247+0], v[vgprValuB_X3_I0+14+0+0:vgprValuB_X3_I0+14+0+0+1], v[vgprValuA_X3_I0+10+0+0:vgprValuA_X3_I0+10+0+0+1], a[244:247]
/*  mfmaIndex:251  */
v_mfma_f32_16x16x16_f16 a[240+0:243+0], v[vgprValuB_X3_I0+14+0+0:vgprValuB_X3_I0+14+0+0+1], v[vgprValuA_X3_I0+8+0+0:vgprValuA_X3_I0+8+0+0+1], a[240:243]
/*  mfmaIndex:252  */
v_mfma_f32_16x16x16_f16 a[236+0:239+0], v[vgprValuB_X3_I0+14+0+0:vgprValuB_X3_I0+14+0+0+1], v[vgprValuA_X3_I0+6+0+0:vgprValuA_X3_I0+6+0+0+1], a[236:239]
/*  mfmaIndex:253  */
v_mfma_f32_16x16x16_f16 a[232+0:235+0], v[vgprValuB_X3_I0+14+0+0:vgprValuB_X3_I0+14+0+0+1], v[vgprValuA_X3_I0+4+0+0:vgprValuA_X3_I0+4+0+0+1], a[232:235]
/*  mfmaIndex:254  */
v_mfma_f32_16x16x16_f16 a[228+0:231+0], v[vgprValuB_X3_I0+14+0+0:vgprValuB_X3_I0+14+0+0+1], v[vgprValuA_X3_I0+2+0+0:vgprValuA_X3_I0+2+0+0+1], a[228:231]
/*  mfmaIndex:255  */
v_mfma_f32_16x16x16_f16 a[224+0:227+0], v[vgprValuB_X3_I0+14+0+0:vgprValuB_X3_I0+14+0+0+1], v[vgprValuA_X3_I0+0+0+0:vgprValuA_X3_I0+0+0+0+1], a[224:227]
s_setprio 0                                        // store optimization

label_0014:


/******************************************/
/* Opt. NoLoadLoop Without PAP - Begin                                      */
/******************************************/

s_cmpk_eq_u32 s[sgprBeta], 0x0                     // Beta == 0
s_cbranch_scc0 OptNLL_End_17                       // Branch if Beta is not zero

s_cmp_eq_u32 s[sgprAlpha], 1.0                     // Alpha == 1.0 ?
s_cbranch_scc0 OptNLL_End_17                       // branch if alpha != 1

s_and_b32 s72, 255, s[sgprSizeI]                   // s72 = s[sgprSizeI] % 256
s_add_u32 s73, -0x1, s[sgprNumWorkGroups0]         // 
s_cmp_ge_u32 s[sgprWorkGroup0], s73                // wg0 >= nwg0-1 ?
s_cselect_b32 s72, s72, 0                          // set rMT0
s_cmpk_gt_u32 s72, 0x0                             // rMT0 > 0
s_cbranch_scc1 OptNLL_End_17                       // jump if edges required
s_and_b32 s72, 255, s[sgprSizeJ]                   // s72 = s[sgprSizeJ] % 256
s_add_u32 s73, -0x1, s[sgprNumWorkGroups1]         // 
s_cmp_ge_u32 s[sgprWorkGroup1], s73                // wg1 >= nwg1-1
s_cselect_b32 s72, s72, 0                          // set rMT1
s_cmpk_gt_u32 s72, 0x0                             // rMT1 > 0
s_cbranch_scc1 OptNLL_End_17                       // jump if edges required


	;; [unrolled: 1-line block ×3, first 2 shown]
/* Tail Loop in NoLoadLoop */
//numIterL = (((sizeL % LOCAL_DEPTHU) + LOCAL_SPLITU - 1) / LOCAL_SPLITU)
s_and_b32 s[sgprLoopCounterL], 63, s[sgprSizesSum+0] // s[sgprLoopCounterL] = s[sgprSizesSum+0] % 64
s_cmp_eq_u32 s[sgprLoopCounterL], 0x0              // numIterL == 0
s_cmov_b32 s[sgprLoopCounterL], 0x40               // Convert 0 to DepthU in tail loop NLL case


	;; [unrolled: 1-line block ×3, first 2 shown]
/* iter 0 (last unrolled loop) */

/*  grEndMfmaIndex:0, lwStartMfmaIndex:228, lwEndMfmaIndex:228  */
/*  numMfmaForLR:22, barrierMfmaIndex:233, LocalWritePerMfma:0.090 */
/*  mfmaIndex:0  */
s_waitcnt lgkmcnt(0)                               // lgkmcnt=0 vmcnt=-1wait for prior local read local write old=0, new=0 newLW=0 newLR=0
/* pack scheduling: packAIdx:2, packBIdx:2 */
v_perm_b32 v[vgprValuA_X0_I0+0], v[vgprValuA_X0_I0_D1+0], v[vgprValuA_X0_I0_D0+0], s[sgprPackKForV0] // select K=01 for vector=0
v_perm_b32 v[vgprValuA_X0_I0+1], v[vgprValuA_X0_I0_D3+0], v[vgprValuA_X0_I0_D2+0], s[sgprPackKForV0] // select K=23 for vector=0
v_perm_b32 v[vgprValuB_X0_I0+0], v[vgprValuB_X0_I0_D1+0], v[vgprValuB_X0_I0_D0+0], s[sgprPackKForV0] // select K=01 for vector=0
v_perm_b32 v[vgprValuB_X0_I0+1], v[vgprValuB_X0_I0_D3+0], v[vgprValuB_X0_I0_D2+0], s[sgprPackKForV0] // select K=23 for vector=0
v_perm_b32 v[vgprValuA_X0_I0+2], v[vgprValuA_X0_I0_D1+0], v[vgprValuA_X0_I0_D0+0], s[sgprPackKForV1] // select K=01 for vector=1
v_perm_b32 v[vgprValuA_X0_I0+3], v[vgprValuA_X0_I0_D3+0], v[vgprValuA_X0_I0_D2+0], s[sgprPackKForV1] // select K=23 for vector=1
s_nop 1
v_mfma_f32_16x16x16_f16 a[0+0:3+0], v[vgprValuB_X0_I0+0+0+0:vgprValuB_X0_I0+0+0+0+1], v[vgprValuA_X0_I0+0+0+0:vgprValuA_X0_I0+0+0+0+1], a[0:3]
/*  mfmaIndex:1  */
_ds_load_b64 v[vgprValuA_X1_I0_D0+0:vgprValuA_X1_I0_D0+0+1], v[vgprLocalReadAddrA] offset:8192 // L -> Reg lro=4096 swapByteOffset=0 ti=128 vIdx=0 rIdx=0 oIdx=0 buffer=1 iui=0
/* pack scheduling: packAIdx:4, packBIdx:2 */
v_perm_b32 v[vgprValuA_X0_I0+4], v[vgprValuA_X0_I0_D1+1], v[vgprValuA_X0_I0_D0+1], s[sgprPackKForV0] // select K=01 for vector=0
v_perm_b32 v[vgprValuA_X0_I0+5], v[vgprValuA_X0_I0_D3+1], v[vgprValuA_X0_I0_D2+1], s[sgprPackKForV0] // select K=23 for vector=0
v_mfma_f32_16x16x16_f16 a[4+0:7+0], v[vgprValuB_X0_I0+0+0+0:vgprValuB_X0_I0+0+0+0+1], v[vgprValuA_X0_I0+2+0+0:vgprValuA_X0_I0+2+0+0+1], a[4:7]
/*  mfmaIndex:2  */
_ds_load_b64 v[vgprValuA_X1_I0_D1+0:vgprValuA_X1_I0_D1+0+1], v[vgprLocalReadAddrA] offset:8704 // L -> Reg lro=4096 swapByteOffset=0 ti=128 vIdx=0 rIdx=1 oIdx=0 buffer=1 iui=0
/* pack scheduling: packAIdx:6, packBIdx:2 */
v_perm_b32 v[vgprValuA_X0_I0+6], v[vgprValuA_X0_I0_D1+1], v[vgprValuA_X0_I0_D0+1], s[sgprPackKForV1] // select K=01 for vector=1
v_perm_b32 v[vgprValuA_X0_I0+7], v[vgprValuA_X0_I0_D3+1], v[vgprValuA_X0_I0_D2+1], s[sgprPackKForV1] // select K=23 for vector=1
v_mfma_f32_16x16x16_f16 a[8+0:11+0], v[vgprValuB_X0_I0+0+0+0:vgprValuB_X0_I0+0+0+0+1], v[vgprValuA_X0_I0+4+0+0:vgprValuA_X0_I0+4+0+0+1], a[8:11]
/*  mfmaIndex:3  */
_ds_load_b64 v[vgprValuA_X1_I0_D2+0:vgprValuA_X1_I0_D2+0+1], v[vgprLocalReadAddrA] offset:9216 // L -> Reg lro=4096 swapByteOffset=0 ti=128 vIdx=0 rIdx=2 oIdx=0 buffer=1 iui=0
/* pack scheduling: packAIdx:8, packBIdx:2 */
v_perm_b32 v[vgprValuA_X0_I0+8], v[vgprValuA_X0_I0_D1+2], v[vgprValuA_X0_I0_D0+2], s[sgprPackKForV0] // select K=01 for vector=0
v_perm_b32 v[vgprValuA_X0_I0+9], v[vgprValuA_X0_I0_D3+2], v[vgprValuA_X0_I0_D2+2], s[sgprPackKForV0] // select K=23 for vector=0
v_mfma_f32_16x16x16_f16 a[12+0:15+0], v[vgprValuB_X0_I0+0+0+0:vgprValuB_X0_I0+0+0+0+1], v[vgprValuA_X0_I0+6+0+0:vgprValuA_X0_I0+6+0+0+1], a[12:15]
/*  mfmaIndex:4  */
_ds_load_b64 v[vgprValuA_X1_I0_D3+0:vgprValuA_X1_I0_D3+0+1], v[vgprLocalReadAddrA] offset:9728 // L -> Reg lro=4096 swapByteOffset=0 ti=128 vIdx=0 rIdx=3 oIdx=0 buffer=1 iui=0
/* pack scheduling: packAIdx:10, packBIdx:2 */
v_perm_b32 v[vgprValuA_X0_I0+10], v[vgprValuA_X0_I0_D1+2], v[vgprValuA_X0_I0_D0+2], s[sgprPackKForV1] // select K=01 for vector=1
v_perm_b32 v[vgprValuA_X0_I0+11], v[vgprValuA_X0_I0_D3+2], v[vgprValuA_X0_I0_D2+2], s[sgprPackKForV1] // select K=23 for vector=1
v_mfma_f32_16x16x16_f16 a[16+0:19+0], v[vgprValuB_X0_I0+0+0+0:vgprValuB_X0_I0+0+0+0+1], v[vgprValuA_X0_I0+8+0+0:vgprValuA_X0_I0+8+0+0+1], a[16:19]
/*  mfmaIndex:5  */
_ds_load_b64 v[vgprValuB_X1_I0_D0+0:vgprValuB_X1_I0_D0+0+1], v[vgprLocalReadAddrB] offset:8192 // L -> Reg lro=4096 swapByteOffset=0 ti=128 vIdx=0 rIdx=0 oIdx=0 buffer=1 iui=0
/* pack scheduling: packAIdx:12, packBIdx:2 */
v_perm_b32 v[vgprValuA_X0_I0+12], v[vgprValuA_X0_I0_D1+3], v[vgprValuA_X0_I0_D0+3], s[sgprPackKForV0] // select K=01 for vector=0
v_perm_b32 v[vgprValuA_X0_I0+13], v[vgprValuA_X0_I0_D3+3], v[vgprValuA_X0_I0_D2+3], s[sgprPackKForV0] // select K=23 for vector=0
v_mfma_f32_16x16x16_f16 a[20+0:23+0], v[vgprValuB_X0_I0+0+0+0:vgprValuB_X0_I0+0+0+0+1], v[vgprValuA_X0_I0+10+0+0:vgprValuA_X0_I0+10+0+0+1], a[20:23]
/*  mfmaIndex:6  */
_ds_load_b64 v[vgprValuB_X1_I0_D1+0:vgprValuB_X1_I0_D1+0+1], v[vgprLocalReadAddrB] offset:8704 // L -> Reg lro=4096 swapByteOffset=0 ti=128 vIdx=0 rIdx=1 oIdx=0 buffer=1 iui=0
/* pack scheduling: packAIdx:14, packBIdx:2 */
v_perm_b32 v[vgprValuA_X0_I0+14], v[vgprValuA_X0_I0_D1+3], v[vgprValuA_X0_I0_D0+3], s[sgprPackKForV1] // select K=01 for vector=1
v_perm_b32 v[vgprValuA_X0_I0+15], v[vgprValuA_X0_I0_D3+3], v[vgprValuA_X0_I0_D2+3], s[sgprPackKForV1] // select K=23 for vector=1
v_mfma_f32_16x16x16_f16 a[24+0:27+0], v[vgprValuB_X0_I0+0+0+0:vgprValuB_X0_I0+0+0+0+1], v[vgprValuA_X0_I0+12+0+0:vgprValuA_X0_I0+12+0+0+1], a[24:27]
/*  mfmaIndex:7  */
_ds_load_b64 v[vgprValuB_X1_I0_D2+0:vgprValuB_X1_I0_D2+0+1], v[vgprLocalReadAddrB] offset:9216 // L -> Reg lro=4096 swapByteOffset=0 ti=128 vIdx=0 rIdx=2 oIdx=0 buffer=1 iui=0
/* pack scheduling: packAIdx:16, packBIdx:2 */
v_perm_b32 v[vgprValuB_X0_I0+2], v[vgprValuB_X0_I0_D1+0], v[vgprValuB_X0_I0_D0+0], s[sgprPackKForV1] // select K=01 for vector=1
v_perm_b32 v[vgprValuB_X0_I0+3], v[vgprValuB_X0_I0_D3+0], v[vgprValuB_X0_I0_D2+0], s[sgprPackKForV1] // select K=23 for vector=1
v_mfma_f32_16x16x16_f16 a[28+0:31+0], v[vgprValuB_X0_I0+0+0+0:vgprValuB_X0_I0+0+0+0+1], v[vgprValuA_X0_I0+14+0+0:vgprValuA_X0_I0+14+0+0+1], a[28:31]
/*  mfmaIndex:8  */
_ds_load_b64 v[vgprValuB_X1_I0_D3+0:vgprValuB_X1_I0_D3+0+1], v[vgprLocalReadAddrB] offset:9728 // L -> Reg lro=4096 swapByteOffset=0 ti=128 vIdx=0 rIdx=3 oIdx=0 buffer=1 iui=0
/* pack scheduling: packAIdx:16, packBIdx:4 */
v_perm_b32 v[vgprValuB_X0_I0+4], v[vgprValuB_X0_I0_D1+1], v[vgprValuB_X0_I0_D0+1], s[sgprPackKForV0] // select K=01 for vector=0
v_perm_b32 v[vgprValuB_X0_I0+5], v[vgprValuB_X0_I0_D3+1], v[vgprValuB_X0_I0_D2+1], s[sgprPackKForV0] // select K=23 for vector=0
v_mfma_f32_16x16x16_f16 a[60+0:63+0], v[vgprValuB_X0_I0+2+0+0:vgprValuB_X0_I0+2+0+0+1], v[vgprValuA_X0_I0+14+0+0:vgprValuA_X0_I0+14+0+0+1], a[60:63]
/*  mfmaIndex:9  */
_ds_load_b64 v[vgprValuA_X1_I0_D0+2:vgprValuA_X1_I0_D0+2+1], v[vgprLocalReadAddrA] offset:8448 // L -> Reg lro=4096 swapByteOffset=0 ti=128 vIdx=1 rIdx=0 oIdx=0 buffer=1 iui=0
/* pack scheduling: packAIdx:16, packBIdx:4 */
v_perm_b32 v[vgprValuB_X0_I0+6], v[vgprValuB_X0_I0_D1+1], v[vgprValuB_X0_I0_D0+1], s[sgprPackKForV1] // select K=01 for vector=1
v_perm_b32 v[vgprValuB_X0_I0+7], v[vgprValuB_X0_I0_D3+1], v[vgprValuB_X0_I0_D2+1], s[sgprPackKForV1] // select K=23 for vector=1
v_mfma_f32_16x16x16_f16 a[56+0:59+0], v[vgprValuB_X0_I0+2+0+0:vgprValuB_X0_I0+2+0+0+1], v[vgprValuA_X0_I0+12+0+0:vgprValuA_X0_I0+12+0+0+1], a[56:59]
/*  mfmaIndex:10  */
_ds_load_b64 v[vgprValuA_X1_I0_D1+2:vgprValuA_X1_I0_D1+2+1], v[vgprLocalReadAddrA] offset:8960 // L -> Reg lro=4096 swapByteOffset=0 ti=128 vIdx=1 rIdx=1 oIdx=0 buffer=1 iui=0
/* pack scheduling: packAIdx:16, packBIdx:4 */
v_perm_b32 v[vgprValuB_X0_I0+8], v[vgprValuB_X0_I0_D1+2], v[vgprValuB_X0_I0_D0+2], s[sgprPackKForV0] // select K=01 for vector=0
v_perm_b32 v[vgprValuB_X0_I0+9], v[vgprValuB_X0_I0_D3+2], v[vgprValuB_X0_I0_D2+2], s[sgprPackKForV0] // select K=23 for vector=0
v_mfma_f32_16x16x16_f16 a[52+0:55+0], v[vgprValuB_X0_I0+2+0+0:vgprValuB_X0_I0+2+0+0+1], v[vgprValuA_X0_I0+10+0+0:vgprValuA_X0_I0+10+0+0+1], a[52:55]
/*  mfmaIndex:11  */
_ds_load_b64 v[vgprValuA_X1_I0_D2+2:vgprValuA_X1_I0_D2+2+1], v[vgprLocalReadAddrA] offset:9472 // L -> Reg lro=4096 swapByteOffset=0 ti=128 vIdx=1 rIdx=2 oIdx=0 buffer=1 iui=0
/* pack scheduling: packAIdx:16, packBIdx:4 */
v_perm_b32 v[vgprValuB_X0_I0+10], v[vgprValuB_X0_I0_D1+2], v[vgprValuB_X0_I0_D0+2], s[sgprPackKForV1] // select K=01 for vector=1
v_perm_b32 v[vgprValuB_X0_I0+11], v[vgprValuB_X0_I0_D3+2], v[vgprValuB_X0_I0_D2+2], s[sgprPackKForV1] // select K=23 for vector=1
v_mfma_f32_16x16x16_f16 a[48+0:51+0], v[vgprValuB_X0_I0+2+0+0:vgprValuB_X0_I0+2+0+0+1], v[vgprValuA_X0_I0+8+0+0:vgprValuA_X0_I0+8+0+0+1], a[48:51]
/*  mfmaIndex:12  */
_ds_load_b64 v[vgprValuA_X1_I0_D3+2:vgprValuA_X1_I0_D3+2+1], v[vgprLocalReadAddrA] offset:9984 // L -> Reg lro=4096 swapByteOffset=0 ti=128 vIdx=1 rIdx=3 oIdx=0 buffer=1 iui=0
/* pack scheduling: packAIdx:16, packBIdx:4 */
v_perm_b32 v[vgprValuB_X0_I0+12], v[vgprValuB_X0_I0_D1+3], v[vgprValuB_X0_I0_D0+3], s[sgprPackKForV0] // select K=01 for vector=0
v_perm_b32 v[vgprValuB_X0_I0+13], v[vgprValuB_X0_I0_D3+3], v[vgprValuB_X0_I0_D2+3], s[sgprPackKForV0] // select K=23 for vector=0
v_mfma_f32_16x16x16_f16 a[44+0:47+0], v[vgprValuB_X0_I0+2+0+0:vgprValuB_X0_I0+2+0+0+1], v[vgprValuA_X0_I0+6+0+0:vgprValuA_X0_I0+6+0+0+1], a[44:47]
/*  mfmaIndex:13  */
_ds_load_b64 v[vgprValuB_X1_I0_D0+2:vgprValuB_X1_I0_D0+2+1], v[vgprLocalReadAddrB] offset:8448 // L -> Reg lro=4096 swapByteOffset=0 ti=128 vIdx=1 rIdx=0 oIdx=0 buffer=1 iui=0
/* pack scheduling: packAIdx:16, packBIdx:4 */
v_perm_b32 v[vgprValuB_X0_I0+14], v[vgprValuB_X0_I0_D1+3], v[vgprValuB_X0_I0_D0+3], s[sgprPackKForV1] // select K=01 for vector=1
v_perm_b32 v[vgprValuB_X0_I0+15], v[vgprValuB_X0_I0_D3+3], v[vgprValuB_X0_I0_D2+3], s[sgprPackKForV1] // select K=23 for vector=1
v_mfma_f32_16x16x16_f16 a[40+0:43+0], v[vgprValuB_X0_I0+2+0+0:vgprValuB_X0_I0+2+0+0+1], v[vgprValuA_X0_I0+4+0+0:vgprValuA_X0_I0+4+0+0+1], a[40:43]
/*  mfmaIndex:14  */
_ds_load_b64 v[vgprValuB_X1_I0_D1+2:vgprValuB_X1_I0_D1+2+1], v[vgprLocalReadAddrB] offset:8960 // L -> Reg lro=4096 swapByteOffset=0 ti=128 vIdx=1 rIdx=1 oIdx=0 buffer=1 iui=0
v_mfma_f32_16x16x16_f16 a[36+0:39+0], v[vgprValuB_X0_I0+2+0+0:vgprValuB_X0_I0+2+0+0+1], v[vgprValuA_X0_I0+2+0+0:vgprValuA_X0_I0+2+0+0+1], a[36:39]
/*  mfmaIndex:15  */
_ds_load_b64 v[vgprValuB_X1_I0_D2+2:vgprValuB_X1_I0_D2+2+1], v[vgprLocalReadAddrB] offset:9472 // L -> Reg lro=4096 swapByteOffset=0 ti=128 vIdx=1 rIdx=2 oIdx=0 buffer=1 iui=0
v_mfma_f32_16x16x16_f16 a[32+0:35+0], v[vgprValuB_X0_I0+2+0+0:vgprValuB_X0_I0+2+0+0+1], v[vgprValuA_X0_I0+0+0+0:vgprValuA_X0_I0+0+0+0+1], a[32:35]
/*  mfmaIndex:16  */
_ds_load_b64 v[vgprValuB_X1_I0_D3+2:vgprValuB_X1_I0_D3+2+1], v[vgprLocalReadAddrB] offset:9984 // L -> Reg lro=4096 swapByteOffset=0 ti=128 vIdx=1 rIdx=3 oIdx=0 buffer=1 iui=0
v_mfma_f32_16x16x16_f16 a[64+0:67+0], v[vgprValuB_X0_I0+4+0+0:vgprValuB_X0_I0+4+0+0+1], v[vgprValuA_X0_I0+0+0+0:vgprValuA_X0_I0+0+0+0+1], a[64:67]
/*  mfmaIndex:17  */
/* localReadsVacancy: latencyLeft 2 */
_ds_load_b64 v[vgprValuA_X2_I0_D0+0:vgprValuA_X2_I0_D0+0+1], v[vgprLocalReadAddrA] offset:16384 // L -> Reg lro=8192 swapByteOffset=0 ti=128 vIdx=0 rIdx=0 oIdx=0 buffer=2 iui=0
v_mfma_f32_16x16x16_f16 a[68+0:71+0], v[vgprValuB_X0_I0+4+0+0:vgprValuB_X0_I0+4+0+0+1], v[vgprValuA_X0_I0+2+0+0:vgprValuA_X0_I0+2+0+0+1], a[68:71]
/*  mfmaIndex:18  */
/* localReadsVacancy: latencyLeft 2 */
_ds_load_b64 v[vgprValuA_X2_I0_D1+0:vgprValuA_X2_I0_D1+0+1], v[vgprLocalReadAddrA] offset:16896 // L -> Reg lro=8192 swapByteOffset=0 ti=128 vIdx=0 rIdx=1 oIdx=0 buffer=2 iui=0
v_mfma_f32_16x16x16_f16 a[72+0:75+0], v[vgprValuB_X0_I0+4+0+0:vgprValuB_X0_I0+4+0+0+1], v[vgprValuA_X0_I0+4+0+0:vgprValuA_X0_I0+4+0+0+1], a[72:75]
/*  mfmaIndex:19  */
/* localReadsVacancy: latencyLeft 2 */
_ds_load_b64 v[vgprValuA_X2_I0_D2+0:vgprValuA_X2_I0_D2+0+1], v[vgprLocalReadAddrA] offset:17408 // L -> Reg lro=8192 swapByteOffset=0 ti=128 vIdx=0 rIdx=2 oIdx=0 buffer=2 iui=0
v_mfma_f32_16x16x16_f16 a[76+0:79+0], v[vgprValuB_X0_I0+4+0+0:vgprValuB_X0_I0+4+0+0+1], v[vgprValuA_X0_I0+6+0+0:vgprValuA_X0_I0+6+0+0+1], a[76:79]
/*  mfmaIndex:20  */
/* localReadsVacancy: latencyLeft 2 */
_ds_load_b64 v[vgprValuA_X2_I0_D3+0:vgprValuA_X2_I0_D3+0+1], v[vgprLocalReadAddrA] offset:17920 // L -> Reg lro=8192 swapByteOffset=0 ti=128 vIdx=0 rIdx=3 oIdx=0 buffer=2 iui=0
v_mfma_f32_16x16x16_f16 a[80+0:83+0], v[vgprValuB_X0_I0+4+0+0:vgprValuB_X0_I0+4+0+0+1], v[vgprValuA_X0_I0+8+0+0:vgprValuA_X0_I0+8+0+0+1], a[80:83]
/*  mfmaIndex:21  */
/* localReadsVacancy: latencyLeft 2 */
_ds_load_b64 v[vgprValuB_X2_I0_D0+0:vgprValuB_X2_I0_D0+0+1], v[vgprLocalReadAddrB] offset:16384 // L -> Reg lro=8192 swapByteOffset=0 ti=128 vIdx=0 rIdx=0 oIdx=0 buffer=2 iui=0
v_mfma_f32_16x16x16_f16 a[84+0:87+0], v[vgprValuB_X0_I0+4+0+0:vgprValuB_X0_I0+4+0+0+1], v[vgprValuA_X0_I0+10+0+0:vgprValuA_X0_I0+10+0+0+1], a[84:87]
/*  mfmaIndex:22  */
/* localReadsVacancy: latencyLeft 2 */
_ds_load_b64 v[vgprValuB_X2_I0_D1+0:vgprValuB_X2_I0_D1+0+1], v[vgprLocalReadAddrB] offset:16896 // L -> Reg lro=8192 swapByteOffset=0 ti=128 vIdx=0 rIdx=1 oIdx=0 buffer=2 iui=0
v_mfma_f32_16x16x16_f16 a[88+0:91+0], v[vgprValuB_X0_I0+4+0+0:vgprValuB_X0_I0+4+0+0+1], v[vgprValuA_X0_I0+12+0+0:vgprValuA_X0_I0+12+0+0+1], a[88:91]
/*  mfmaIndex:23  */
/* localReadsVacancy: latencyLeft 2 */
_ds_load_b64 v[vgprValuB_X2_I0_D2+0:vgprValuB_X2_I0_D2+0+1], v[vgprLocalReadAddrB] offset:17408 // L -> Reg lro=8192 swapByteOffset=0 ti=128 vIdx=0 rIdx=2 oIdx=0 buffer=2 iui=0
v_mfma_f32_16x16x16_f16 a[92+0:95+0], v[vgprValuB_X0_I0+4+0+0:vgprValuB_X0_I0+4+0+0+1], v[vgprValuA_X0_I0+14+0+0:vgprValuA_X0_I0+14+0+0+1], a[92:95]
/*  mfmaIndex:24  */
/* localReadsVacancy: latencyLeft 2 */
_ds_load_b64 v[vgprValuB_X2_I0_D3+0:vgprValuB_X2_I0_D3+0+1], v[vgprLocalReadAddrB] offset:17920 // L -> Reg lro=8192 swapByteOffset=0 ti=128 vIdx=0 rIdx=3 oIdx=0 buffer=2 iui=0
v_mfma_f32_16x16x16_f16 a[124+0:127+0], v[vgprValuB_X0_I0+6+0+0:vgprValuB_X0_I0+6+0+0+1], v[vgprValuA_X0_I0+14+0+0:vgprValuA_X0_I0+14+0+0+1], a[124:127]
/*  mfmaIndex:25  */
/* localReadsVacancy: latencyLeft 2 */
_ds_load_b64 v[vgprValuA_X2_I0_D0+2:vgprValuA_X2_I0_D0+2+1], v[vgprLocalReadAddrA] offset:16640 // L -> Reg lro=8192 swapByteOffset=0 ti=128 vIdx=1 rIdx=0 oIdx=0 buffer=2 iui=0
v_mfma_f32_16x16x16_f16 a[120+0:123+0], v[vgprValuB_X0_I0+6+0+0:vgprValuB_X0_I0+6+0+0+1], v[vgprValuA_X0_I0+12+0+0:vgprValuA_X0_I0+12+0+0+1], a[120:123]
/*  mfmaIndex:26  */
/* localReadsVacancy: latencyLeft 2 */
_ds_load_b64 v[vgprValuA_X2_I0_D1+2:vgprValuA_X2_I0_D1+2+1], v[vgprLocalReadAddrA] offset:17152 // L -> Reg lro=8192 swapByteOffset=0 ti=128 vIdx=1 rIdx=1 oIdx=0 buffer=2 iui=0
v_mfma_f32_16x16x16_f16 a[116+0:119+0], v[vgprValuB_X0_I0+6+0+0:vgprValuB_X0_I0+6+0+0+1], v[vgprValuA_X0_I0+10+0+0:vgprValuA_X0_I0+10+0+0+1], a[116:119]
/*  mfmaIndex:27  */
/* localReadsVacancy: latencyLeft 2 */
_ds_load_b64 v[vgprValuA_X2_I0_D2+2:vgprValuA_X2_I0_D2+2+1], v[vgprLocalReadAddrA] offset:17664 // L -> Reg lro=8192 swapByteOffset=0 ti=128 vIdx=1 rIdx=2 oIdx=0 buffer=2 iui=0
v_mfma_f32_16x16x16_f16 a[112+0:115+0], v[vgprValuB_X0_I0+6+0+0:vgprValuB_X0_I0+6+0+0+1], v[vgprValuA_X0_I0+8+0+0:vgprValuA_X0_I0+8+0+0+1], a[112:115]
/*  mfmaIndex:28  */
/* localReadsVacancy: latencyLeft 2 */
_ds_load_b64 v[vgprValuA_X2_I0_D3+2:vgprValuA_X2_I0_D3+2+1], v[vgprLocalReadAddrA] offset:18176 // L -> Reg lro=8192 swapByteOffset=0 ti=128 vIdx=1 rIdx=3 oIdx=0 buffer=2 iui=0
v_mfma_f32_16x16x16_f16 a[108+0:111+0], v[vgprValuB_X0_I0+6+0+0:vgprValuB_X0_I0+6+0+0+1], v[vgprValuA_X0_I0+6+0+0:vgprValuA_X0_I0+6+0+0+1], a[108:111]
/*  mfmaIndex:29  */
/* localReadsVacancy: latencyLeft 2 */
_ds_load_b64 v[vgprValuB_X2_I0_D0+2:vgprValuB_X2_I0_D0+2+1], v[vgprLocalReadAddrB] offset:16640 // L -> Reg lro=8192 swapByteOffset=0 ti=128 vIdx=1 rIdx=0 oIdx=0 buffer=2 iui=0
v_mfma_f32_16x16x16_f16 a[104+0:107+0], v[vgprValuB_X0_I0+6+0+0:vgprValuB_X0_I0+6+0+0+1], v[vgprValuA_X0_I0+4+0+0:vgprValuA_X0_I0+4+0+0+1], a[104:107]
/*  mfmaIndex:30  */
/* localReadsVacancy: latencyLeft 2 */
_ds_load_b64 v[vgprValuB_X2_I0_D1+2:vgprValuB_X2_I0_D1+2+1], v[vgprLocalReadAddrB] offset:17152 // L -> Reg lro=8192 swapByteOffset=0 ti=128 vIdx=1 rIdx=1 oIdx=0 buffer=2 iui=0
v_mfma_f32_16x16x16_f16 a[100+0:103+0], v[vgprValuB_X0_I0+6+0+0:vgprValuB_X0_I0+6+0+0+1], v[vgprValuA_X0_I0+2+0+0:vgprValuA_X0_I0+2+0+0+1], a[100:103]
/*  mfmaIndex:31  */
/* localReadsVacancy: latencyLeft 2 */
_ds_load_b64 v[vgprValuB_X2_I0_D2+2:vgprValuB_X2_I0_D2+2+1], v[vgprLocalReadAddrB] offset:17664 // L -> Reg lro=8192 swapByteOffset=0 ti=128 vIdx=1 rIdx=2 oIdx=0 buffer=2 iui=0
v_mfma_f32_16x16x16_f16 a[96+0:99+0], v[vgprValuB_X0_I0+6+0+0:vgprValuB_X0_I0+6+0+0+1], v[vgprValuA_X0_I0+0+0+0:vgprValuA_X0_I0+0+0+0+1], a[96:99]
/*  mfmaIndex:32  */
/* localReadsVacancy: latencyLeft 2 */
_ds_load_b64 v[vgprValuB_X2_I0_D3+2:vgprValuB_X2_I0_D3+2+1], v[vgprLocalReadAddrB] offset:18176 // L -> Reg lro=8192 swapByteOffset=0 ti=128 vIdx=1 rIdx=3 oIdx=0 buffer=2 iui=0
v_mfma_f32_16x16x16_f16 a[128+0:131+0], v[vgprValuB_X0_I0+8+0+0:vgprValuB_X0_I0+8+0+0+1], v[vgprValuA_X0_I0+0+0+0:vgprValuA_X0_I0+0+0+0+1], a[128:131]
/*  mfmaIndex:33  */
/* localReadsVacancy: latencyLeft 2 */
_ds_load_b64 v[vgprValuA_X3_I0_D0+0:vgprValuA_X3_I0_D0+0+1], v[vgprLocalReadAddrA] offset:24576 // L -> Reg lro=12288 swapByteOffset=0 ti=128 vIdx=0 rIdx=0 oIdx=0 buffer=3 iui=0
v_mfma_f32_16x16x16_f16 a[132+0:135+0], v[vgprValuB_X0_I0+8+0+0:vgprValuB_X0_I0+8+0+0+1], v[vgprValuA_X0_I0+2+0+0:vgprValuA_X0_I0+2+0+0+1], a[132:135]
/*  mfmaIndex:34  */
/* localReadsVacancy: latencyLeft 2 */
_ds_load_b64 v[vgprValuA_X3_I0_D1+0:vgprValuA_X3_I0_D1+0+1], v[vgprLocalReadAddrA] offset:25088 // L -> Reg lro=12288 swapByteOffset=0 ti=128 vIdx=0 rIdx=1 oIdx=0 buffer=3 iui=0
v_mfma_f32_16x16x16_f16 a[136+0:139+0], v[vgprValuB_X0_I0+8+0+0:vgprValuB_X0_I0+8+0+0+1], v[vgprValuA_X0_I0+4+0+0:vgprValuA_X0_I0+4+0+0+1], a[136:139]
/*  mfmaIndex:35  */
/* localReadsVacancy: latencyLeft 2 */
_ds_load_b64 v[vgprValuA_X3_I0_D2+0:vgprValuA_X3_I0_D2+0+1], v[vgprLocalReadAddrA] offset:25600 // L -> Reg lro=12288 swapByteOffset=0 ti=128 vIdx=0 rIdx=2 oIdx=0 buffer=3 iui=0
v_mfma_f32_16x16x16_f16 a[140+0:143+0], v[vgprValuB_X0_I0+8+0+0:vgprValuB_X0_I0+8+0+0+1], v[vgprValuA_X0_I0+6+0+0:vgprValuA_X0_I0+6+0+0+1], a[140:143]
/*  mfmaIndex:36  */
/* localReadsVacancy: latencyLeft 2 */
_ds_load_b64 v[vgprValuA_X3_I0_D3+0:vgprValuA_X3_I0_D3+0+1], v[vgprLocalReadAddrA] offset:26112 // L -> Reg lro=12288 swapByteOffset=0 ti=128 vIdx=0 rIdx=3 oIdx=0 buffer=3 iui=0
v_mfma_f32_16x16x16_f16 a[144+0:147+0], v[vgprValuB_X0_I0+8+0+0:vgprValuB_X0_I0+8+0+0+1], v[vgprValuA_X0_I0+8+0+0:vgprValuA_X0_I0+8+0+0+1], a[144:147]
/*  mfmaIndex:37  */
/* localReadsVacancy: latencyLeft 2 */
_ds_load_b64 v[vgprValuB_X3_I0_D0+0:vgprValuB_X3_I0_D0+0+1], v[vgprLocalReadAddrB] offset:24576 // L -> Reg lro=12288 swapByteOffset=0 ti=128 vIdx=0 rIdx=0 oIdx=0 buffer=3 iui=0
v_mfma_f32_16x16x16_f16 a[148+0:151+0], v[vgprValuB_X0_I0+8+0+0:vgprValuB_X0_I0+8+0+0+1], v[vgprValuA_X0_I0+10+0+0:vgprValuA_X0_I0+10+0+0+1], a[148:151]
/*  mfmaIndex:38  */
/* localReadsVacancy: latencyLeft 2 */
_ds_load_b64 v[vgprValuB_X3_I0_D1+0:vgprValuB_X3_I0_D1+0+1], v[vgprLocalReadAddrB] offset:25088 // L -> Reg lro=12288 swapByteOffset=0 ti=128 vIdx=0 rIdx=1 oIdx=0 buffer=3 iui=0
v_mfma_f32_16x16x16_f16 a[152+0:155+0], v[vgprValuB_X0_I0+8+0+0:vgprValuB_X0_I0+8+0+0+1], v[vgprValuA_X0_I0+12+0+0:vgprValuA_X0_I0+12+0+0+1], a[152:155]
/*  mfmaIndex:39  */
/* localReadsVacancy: latencyLeft 2 */
_ds_load_b64 v[vgprValuB_X3_I0_D2+0:vgprValuB_X3_I0_D2+0+1], v[vgprLocalReadAddrB] offset:25600 // L -> Reg lro=12288 swapByteOffset=0 ti=128 vIdx=0 rIdx=2 oIdx=0 buffer=3 iui=0
v_mfma_f32_16x16x16_f16 a[156+0:159+0], v[vgprValuB_X0_I0+8+0+0:vgprValuB_X0_I0+8+0+0+1], v[vgprValuA_X0_I0+14+0+0:vgprValuA_X0_I0+14+0+0+1], a[156:159]
/*  mfmaIndex:40  */
/* localReadsVacancy: latencyLeft 2 */
_ds_load_b64 v[vgprValuB_X3_I0_D3+0:vgprValuB_X3_I0_D3+0+1], v[vgprLocalReadAddrB] offset:26112 // L -> Reg lro=12288 swapByteOffset=0 ti=128 vIdx=0 rIdx=3 oIdx=0 buffer=3 iui=0
v_mfma_f32_16x16x16_f16 a[188+0:191+0], v[vgprValuB_X0_I0+10+0+0:vgprValuB_X0_I0+10+0+0+1], v[vgprValuA_X0_I0+14+0+0:vgprValuA_X0_I0+14+0+0+1], a[188:191]
/*  mfmaIndex:41  */
/* localReadsVacancy: latencyLeft 2 */
_ds_load_b64 v[vgprValuA_X3_I0_D0+2:vgprValuA_X3_I0_D0+2+1], v[vgprLocalReadAddrA] offset:24832 // L -> Reg lro=12288 swapByteOffset=0 ti=128 vIdx=1 rIdx=0 oIdx=0 buffer=3 iui=0
v_mfma_f32_16x16x16_f16 a[184+0:187+0], v[vgprValuB_X0_I0+10+0+0:vgprValuB_X0_I0+10+0+0+1], v[vgprValuA_X0_I0+12+0+0:vgprValuA_X0_I0+12+0+0+1], a[184:187]
/*  mfmaIndex:42  */
/* localReadsVacancy: latencyLeft 2 */
_ds_load_b64 v[vgprValuA_X3_I0_D1+2:vgprValuA_X3_I0_D1+2+1], v[vgprLocalReadAddrA] offset:25344 // L -> Reg lro=12288 swapByteOffset=0 ti=128 vIdx=1 rIdx=1 oIdx=0 buffer=3 iui=0
v_mfma_f32_16x16x16_f16 a[180+0:183+0], v[vgprValuB_X0_I0+10+0+0:vgprValuB_X0_I0+10+0+0+1], v[vgprValuA_X0_I0+10+0+0:vgprValuA_X0_I0+10+0+0+1], a[180:183]
/*  mfmaIndex:43  */
/* localReadsVacancy: latencyLeft 2 */
_ds_load_b64 v[vgprValuA_X3_I0_D2+2:vgprValuA_X3_I0_D2+2+1], v[vgprLocalReadAddrA] offset:25856 // L -> Reg lro=12288 swapByteOffset=0 ti=128 vIdx=1 rIdx=2 oIdx=0 buffer=3 iui=0
v_mfma_f32_16x16x16_f16 a[176+0:179+0], v[vgprValuB_X0_I0+10+0+0:vgprValuB_X0_I0+10+0+0+1], v[vgprValuA_X0_I0+8+0+0:vgprValuA_X0_I0+8+0+0+1], a[176:179]
/*  mfmaIndex:44  */
/* localReadsVacancy: latencyLeft 2 */
_ds_load_b64 v[vgprValuA_X3_I0_D3+2:vgprValuA_X3_I0_D3+2+1], v[vgprLocalReadAddrA] offset:26368 // L -> Reg lro=12288 swapByteOffset=0 ti=128 vIdx=1 rIdx=3 oIdx=0 buffer=3 iui=0
v_mfma_f32_16x16x16_f16 a[172+0:175+0], v[vgprValuB_X0_I0+10+0+0:vgprValuB_X0_I0+10+0+0+1], v[vgprValuA_X0_I0+6+0+0:vgprValuA_X0_I0+6+0+0+1], a[172:175]
/*  mfmaIndex:45  */
/* localReadsVacancy: latencyLeft 2 */
_ds_load_b64 v[vgprValuB_X3_I0_D0+2:vgprValuB_X3_I0_D0+2+1], v[vgprLocalReadAddrB] offset:24832 // L -> Reg lro=12288 swapByteOffset=0 ti=128 vIdx=1 rIdx=0 oIdx=0 buffer=3 iui=0
v_mfma_f32_16x16x16_f16 a[168+0:171+0], v[vgprValuB_X0_I0+10+0+0:vgprValuB_X0_I0+10+0+0+1], v[vgprValuA_X0_I0+4+0+0:vgprValuA_X0_I0+4+0+0+1], a[168:171]
/*  mfmaIndex:46  */
/* localReadsVacancy: latencyLeft 2 */
_ds_load_b64 v[vgprValuB_X3_I0_D1+2:vgprValuB_X3_I0_D1+2+1], v[vgprLocalReadAddrB] offset:25344 // L -> Reg lro=12288 swapByteOffset=0 ti=128 vIdx=1 rIdx=1 oIdx=0 buffer=3 iui=0
v_mfma_f32_16x16x16_f16 a[164+0:167+0], v[vgprValuB_X0_I0+10+0+0:vgprValuB_X0_I0+10+0+0+1], v[vgprValuA_X0_I0+2+0+0:vgprValuA_X0_I0+2+0+0+1], a[164:167]
/*  mfmaIndex:47  */
/* localReadsVacancy: latencyLeft 2 */
_ds_load_b64 v[vgprValuB_X3_I0_D2+2:vgprValuB_X3_I0_D2+2+1], v[vgprLocalReadAddrB] offset:25856 // L -> Reg lro=12288 swapByteOffset=0 ti=128 vIdx=1 rIdx=2 oIdx=0 buffer=3 iui=0
v_mfma_f32_16x16x16_f16 a[160+0:163+0], v[vgprValuB_X0_I0+10+0+0:vgprValuB_X0_I0+10+0+0+1], v[vgprValuA_X0_I0+0+0+0:vgprValuA_X0_I0+0+0+0+1], a[160:163]
/*  mfmaIndex:48  */
/* localReadsVacancy: latencyLeft 2 */
_ds_load_b64 v[vgprValuB_X3_I0_D3+2:vgprValuB_X3_I0_D3+2+1], v[vgprLocalReadAddrB] offset:26368 // L -> Reg lro=12288 swapByteOffset=0 ti=128 vIdx=1 rIdx=3 oIdx=0 buffer=3 iui=0
v_mfma_f32_16x16x16_f16 a[192+0:195+0], v[vgprValuB_X0_I0+12+0+0:vgprValuB_X0_I0+12+0+0+1], v[vgprValuA_X0_I0+0+0+0:vgprValuA_X0_I0+0+0+0+1], a[192:195]
/*  mfmaIndex:49  */
/* localReadsVacancy: latencyLeft 2 */
v_mfma_f32_16x16x16_f16 a[196+0:199+0], v[vgprValuB_X0_I0+12+0+0:vgprValuB_X0_I0+12+0+0+1], v[vgprValuA_X0_I0+2+0+0:vgprValuA_X0_I0+2+0+0+1], a[196:199]
/*  mfmaIndex:50  */
/* localReadsVacancy: latencyLeft 2 */
	;; [unrolled: 3-line block ×15, first 2 shown]
v_mfma_f32_16x16x16_f16 a[224+0:227+0], v[vgprValuB_X0_I0+14+0+0:vgprValuB_X0_I0+14+0+0+1], v[vgprValuA_X0_I0+0+0+0:vgprValuA_X0_I0+0+0+0+1], a[224:227]
/* numPrefetchIter=0 */
/* dataAtIterA=-1 numReadsIterA=1 skipReadsIterA=1 readsPerIterA=8 */
/* dataAtIterB=-1 numReadsIterB=1 skipReadsIterB=1 readsPerIterB=8 */


/* closeLoop loopL finalLoop=0 tailLoop=1 */
s_sub_i32 s[sgprLoopCounterL], s[sgprLoopCounterL], 0x10 // dec counterL (tailLoop)
s_add_u32 s[sgprOrigLoopCounter], s[sgprOrigLoopCounter], 0x10 // inc counterL
s_cmp_le_i32 s[sgprLoopCounterL], 0x0              // counterL<=0
s_cbranch_scc1 TailLoopEndL_OptNLL_19              // exit LoopL


/* iter 1 (last unrolled loop) */

/*  grEndMfmaIndex:0, lwStartMfmaIndex:228, lwEndMfmaIndex:228  */
/*  numMfmaForLR:22, barrierMfmaIndex:233, LocalWritePerMfma:0.090 */
/*  mfmaIndex:64  */
/* localReadsVacancy: latencyLeft 2 */
s_waitcnt lgkmcnt(15)                              // lgkmcnt=0 vmcnt=-1wait for prior local read local write old=16, new=16 newLW=0 newLR=0
/* pack scheduling: packAIdx:2, packBIdx:2 */
v_perm_b32 v[vgprValuA_X1_I0+0], v[vgprValuA_X1_I0_D1+0], v[vgprValuA_X1_I0_D0+0], s[sgprPackKForV0] // select K=01 for vector=0
v_perm_b32 v[vgprValuA_X1_I0+1], v[vgprValuA_X1_I0_D3+0], v[vgprValuA_X1_I0_D2+0], s[sgprPackKForV0] // select K=23 for vector=0
v_perm_b32 v[vgprValuB_X1_I0+0], v[vgprValuB_X1_I0_D1+0], v[vgprValuB_X1_I0_D0+0], s[sgprPackKForV0] // select K=01 for vector=0
v_perm_b32 v[vgprValuB_X1_I0+1], v[vgprValuB_X1_I0_D3+0], v[vgprValuB_X1_I0_D2+0], s[sgprPackKForV0] // select K=23 for vector=0
v_perm_b32 v[vgprValuA_X1_I0+2], v[vgprValuA_X1_I0_D1+0], v[vgprValuA_X1_I0_D0+0], s[sgprPackKForV1] // select K=01 for vector=1
v_perm_b32 v[vgprValuA_X1_I0+3], v[vgprValuA_X1_I0_D3+0], v[vgprValuA_X1_I0_D2+0], s[sgprPackKForV1] // select K=23 for vector=1
s_nop 1
v_mfma_f32_16x16x16_f16 a[0+0:3+0], v[vgprValuB_X1_I0+0+0+0:vgprValuB_X1_I0+0+0+0+1], v[vgprValuA_X1_I0+0+0+0:vgprValuA_X1_I0+0+0+0+1], a[0:3]
/*  mfmaIndex:65  */
/* localReadsVacancy: latencyLeft 2 */
/* pack scheduling: packAIdx:4, packBIdx:2 */
v_perm_b32 v[vgprValuA_X1_I0+4], v[vgprValuA_X1_I0_D1+1], v[vgprValuA_X1_I0_D0+1], s[sgprPackKForV0] // select K=01 for vector=0
v_perm_b32 v[vgprValuA_X1_I0+5], v[vgprValuA_X1_I0_D3+1], v[vgprValuA_X1_I0_D2+1], s[sgprPackKForV0] // select K=23 for vector=0
v_mfma_f32_16x16x16_f16 a[4+0:7+0], v[vgprValuB_X1_I0+0+0+0:vgprValuB_X1_I0+0+0+0+1], v[vgprValuA_X1_I0+2+0+0:vgprValuA_X1_I0+2+0+0+1], a[4:7]
/*  mfmaIndex:66  */
/* localReadsVacancy: latencyLeft 2 */
/* pack scheduling: packAIdx:6, packBIdx:2 */
v_perm_b32 v[vgprValuA_X1_I0+6], v[vgprValuA_X1_I0_D1+1], v[vgprValuA_X1_I0_D0+1], s[sgprPackKForV1] // select K=01 for vector=1
v_perm_b32 v[vgprValuA_X1_I0+7], v[vgprValuA_X1_I0_D3+1], v[vgprValuA_X1_I0_D2+1], s[sgprPackKForV1] // select K=23 for vector=1
v_mfma_f32_16x16x16_f16 a[8+0:11+0], v[vgprValuB_X1_I0+0+0+0:vgprValuB_X1_I0+0+0+0+1], v[vgprValuA_X1_I0+4+0+0:vgprValuA_X1_I0+4+0+0+1], a[8:11]
/*  mfmaIndex:67  */
/* localReadsVacancy: latencyLeft 2 */
/* pack scheduling: packAIdx:8, packBIdx:2 */
v_perm_b32 v[vgprValuA_X1_I0+8], v[vgprValuA_X1_I0_D1+2], v[vgprValuA_X1_I0_D0+2], s[sgprPackKForV0] // select K=01 for vector=0
v_perm_b32 v[vgprValuA_X1_I0+9], v[vgprValuA_X1_I0_D3+2], v[vgprValuA_X1_I0_D2+2], s[sgprPackKForV0] // select K=23 for vector=0
v_mfma_f32_16x16x16_f16 a[12+0:15+0], v[vgprValuB_X1_I0+0+0+0:vgprValuB_X1_I0+0+0+0+1], v[vgprValuA_X1_I0+6+0+0:vgprValuA_X1_I0+6+0+0+1], a[12:15]
/*  mfmaIndex:68  */
/* localReadsVacancy: latencyLeft 2 */
/* pack scheduling: packAIdx:10, packBIdx:2 */
v_perm_b32 v[vgprValuA_X1_I0+10], v[vgprValuA_X1_I0_D1+2], v[vgprValuA_X1_I0_D0+2], s[sgprPackKForV1] // select K=01 for vector=1
v_perm_b32 v[vgprValuA_X1_I0+11], v[vgprValuA_X1_I0_D3+2], v[vgprValuA_X1_I0_D2+2], s[sgprPackKForV1] // select K=23 for vector=1
	;; [unrolled: 12-line block ×3, first 2 shown]
v_mfma_f32_16x16x16_f16 a[24+0:27+0], v[vgprValuB_X1_I0+0+0+0:vgprValuB_X1_I0+0+0+0+1], v[vgprValuA_X1_I0+12+0+0:vgprValuA_X1_I0+12+0+0+1], a[24:27]
/*  mfmaIndex:71  */
/* localReadsVacancy: latencyLeft 2 */
/* pack scheduling: packAIdx:16, packBIdx:2 */
v_perm_b32 v[vgprValuB_X1_I0+2], v[vgprValuB_X1_I0_D1+0], v[vgprValuB_X1_I0_D0+0], s[sgprPackKForV1] // select K=01 for vector=1
v_perm_b32 v[vgprValuB_X1_I0+3], v[vgprValuB_X1_I0_D3+0], v[vgprValuB_X1_I0_D2+0], s[sgprPackKForV1] // select K=23 for vector=1
v_mfma_f32_16x16x16_f16 a[28+0:31+0], v[vgprValuB_X1_I0+0+0+0:vgprValuB_X1_I0+0+0+0+1], v[vgprValuA_X1_I0+14+0+0:vgprValuA_X1_I0+14+0+0+1], a[28:31]
/*  mfmaIndex:72  */
/* localReadsVacancy: latencyLeft 2 */
/* pack scheduling: packAIdx:16, packBIdx:4 */
v_perm_b32 v[vgprValuB_X1_I0+4], v[vgprValuB_X1_I0_D1+1], v[vgprValuB_X1_I0_D0+1], s[sgprPackKForV0] // select K=01 for vector=0
v_perm_b32 v[vgprValuB_X1_I0+5], v[vgprValuB_X1_I0_D3+1], v[vgprValuB_X1_I0_D2+1], s[sgprPackKForV0] // select K=23 for vector=0
v_mfma_f32_16x16x16_f16 a[60+0:63+0], v[vgprValuB_X1_I0+2+0+0:vgprValuB_X1_I0+2+0+0+1], v[vgprValuA_X1_I0+14+0+0:vgprValuA_X1_I0+14+0+0+1], a[60:63]
/*  mfmaIndex:73  */
/* localReadsVacancy: latencyLeft 2 */
/* pack scheduling: packAIdx:16, packBIdx:4 */
v_perm_b32 v[vgprValuB_X1_I0+6], v[vgprValuB_X1_I0_D1+1], v[vgprValuB_X1_I0_D0+1], s[sgprPackKForV1] // select K=01 for vector=1
v_perm_b32 v[vgprValuB_X1_I0+7], v[vgprValuB_X1_I0_D3+1], v[vgprValuB_X1_I0_D2+1], s[sgprPackKForV1] // select K=23 for vector=1
v_mfma_f32_16x16x16_f16 a[56+0:59+0], v[vgprValuB_X1_I0+2+0+0:vgprValuB_X1_I0+2+0+0+1], v[vgprValuA_X1_I0+12+0+0:vgprValuA_X1_I0+12+0+0+1], a[56:59]
/*  mfmaIndex:74  */
/* localReadsVacancy: latencyLeft 2 */
/* pack scheduling: packAIdx:16, packBIdx:4 */
v_perm_b32 v[vgprValuB_X1_I0+8], v[vgprValuB_X1_I0_D1+2], v[vgprValuB_X1_I0_D0+2], s[sgprPackKForV0] // select K=01 for vector=0
v_perm_b32 v[vgprValuB_X1_I0+9], v[vgprValuB_X1_I0_D3+2], v[vgprValuB_X1_I0_D2+2], s[sgprPackKForV0] // select K=23 for vector=0
	;; [unrolled: 12-line block ×3, first 2 shown]
v_mfma_f32_16x16x16_f16 a[44+0:47+0], v[vgprValuB_X1_I0+2+0+0:vgprValuB_X1_I0+2+0+0+1], v[vgprValuA_X1_I0+6+0+0:vgprValuA_X1_I0+6+0+0+1], a[44:47]
/*  mfmaIndex:77  */
/* localReadsVacancy: latencyLeft 2 */
/* pack scheduling: packAIdx:16, packBIdx:4 */
v_perm_b32 v[vgprValuB_X1_I0+14], v[vgprValuB_X1_I0_D1+3], v[vgprValuB_X1_I0_D0+3], s[sgprPackKForV1] // select K=01 for vector=1
v_perm_b32 v[vgprValuB_X1_I0+15], v[vgprValuB_X1_I0_D3+3], v[vgprValuB_X1_I0_D2+3], s[sgprPackKForV1] // select K=23 for vector=1
v_mfma_f32_16x16x16_f16 a[40+0:43+0], v[vgprValuB_X1_I0+2+0+0:vgprValuB_X1_I0+2+0+0+1], v[vgprValuA_X1_I0+4+0+0:vgprValuA_X1_I0+4+0+0+1], a[40:43]
/*  mfmaIndex:78  */
/* localReadsVacancy: latencyLeft 2 */
v_mfma_f32_16x16x16_f16 a[36+0:39+0], v[vgprValuB_X1_I0+2+0+0:vgprValuB_X1_I0+2+0+0+1], v[vgprValuA_X1_I0+2+0+0:vgprValuA_X1_I0+2+0+0+1], a[36:39]
/*  mfmaIndex:79  */
/* localReadsVacancy: latencyLeft 2 */
	;; [unrolled: 3-line block ×50, first 2 shown]
v_mfma_f32_16x16x16_f16 a[224+0:227+0], v[vgprValuB_X1_I0+14+0+0:vgprValuB_X1_I0+14+0+0+1], v[vgprValuA_X1_I0+0+0+0:vgprValuA_X1_I0+0+0+0+1], a[224:227]
/* numPrefetchIter=0 */
/* dataAtIterA=0 numReadsIterA=2 skipReadsIterA=1 readsPerIterA=8 */
/* dataAtIterB=0 numReadsIterB=2 skipReadsIterB=1 readsPerIterB=8 */


/* closeLoop loopL finalLoop=0 tailLoop=1 */
s_sub_i32 s[sgprLoopCounterL], s[sgprLoopCounterL], 0x10 // dec counterL (tailLoop)
s_add_u32 s[sgprOrigLoopCounter], s[sgprOrigLoopCounter], 0x10 // inc counterL
s_cmp_le_i32 s[sgprLoopCounterL], 0x0              // counterL<=0
s_cbranch_scc1 TailLoopEndL_OptNLL_19              // exit LoopL


/* iter 2 (last unrolled loop) */

/*  grEndMfmaIndex:0, lwStartMfmaIndex:228, lwEndMfmaIndex:228  */
/*  numMfmaForLR:22, barrierMfmaIndex:233, LocalWritePerMfma:0.090 */
/*  mfmaIndex:128  */
/* localReadsVacancy: latencyLeft 2 */
s_waitcnt lgkmcnt(0)                               // lgkmcnt=0 vmcnt=-1wait for prior local read local write old=0, new=0 newLW=0 newLR=0
/* pack scheduling: packAIdx:2, packBIdx:2 */
v_perm_b32 v[vgprValuA_X2_I0+0], v[vgprValuA_X2_I0_D1+0], v[vgprValuA_X2_I0_D0+0], s[sgprPackKForV0] // select K=01 for vector=0
v_perm_b32 v[vgprValuA_X2_I0+1], v[vgprValuA_X2_I0_D3+0], v[vgprValuA_X2_I0_D2+0], s[sgprPackKForV0] // select K=23 for vector=0
v_perm_b32 v[vgprValuB_X2_I0+0], v[vgprValuB_X2_I0_D1+0], v[vgprValuB_X2_I0_D0+0], s[sgprPackKForV0] // select K=01 for vector=0
v_perm_b32 v[vgprValuB_X2_I0+1], v[vgprValuB_X2_I0_D3+0], v[vgprValuB_X2_I0_D2+0], s[sgprPackKForV0] // select K=23 for vector=0
v_perm_b32 v[vgprValuA_X2_I0+2], v[vgprValuA_X2_I0_D1+0], v[vgprValuA_X2_I0_D0+0], s[sgprPackKForV1] // select K=01 for vector=1
v_perm_b32 v[vgprValuA_X2_I0+3], v[vgprValuA_X2_I0_D3+0], v[vgprValuA_X2_I0_D2+0], s[sgprPackKForV1] // select K=23 for vector=1
s_nop 1
v_mfma_f32_16x16x16_f16 a[0+0:3+0], v[vgprValuB_X2_I0+0+0+0:vgprValuB_X2_I0+0+0+0+1], v[vgprValuA_X2_I0+0+0+0:vgprValuA_X2_I0+0+0+0+1], a[0:3]
/*  mfmaIndex:129  */
/* localReadsVacancy: latencyLeft 2 */
/* pack scheduling: packAIdx:4, packBIdx:2 */
v_perm_b32 v[vgprValuA_X2_I0+4], v[vgprValuA_X2_I0_D1+1], v[vgprValuA_X2_I0_D0+1], s[sgprPackKForV0] // select K=01 for vector=0
v_perm_b32 v[vgprValuA_X2_I0+5], v[vgprValuA_X2_I0_D3+1], v[vgprValuA_X2_I0_D2+1], s[sgprPackKForV0] // select K=23 for vector=0
v_mfma_f32_16x16x16_f16 a[4+0:7+0], v[vgprValuB_X2_I0+0+0+0:vgprValuB_X2_I0+0+0+0+1], v[vgprValuA_X2_I0+2+0+0:vgprValuA_X2_I0+2+0+0+1], a[4:7]
/*  mfmaIndex:130  */
/* localReadsVacancy: latencyLeft 2 */
/* pack scheduling: packAIdx:6, packBIdx:2 */
v_perm_b32 v[vgprValuA_X2_I0+6], v[vgprValuA_X2_I0_D1+1], v[vgprValuA_X2_I0_D0+1], s[sgprPackKForV1] // select K=01 for vector=1
v_perm_b32 v[vgprValuA_X2_I0+7], v[vgprValuA_X2_I0_D3+1], v[vgprValuA_X2_I0_D2+1], s[sgprPackKForV1] // select K=23 for vector=1
v_mfma_f32_16x16x16_f16 a[8+0:11+0], v[vgprValuB_X2_I0+0+0+0:vgprValuB_X2_I0+0+0+0+1], v[vgprValuA_X2_I0+4+0+0:vgprValuA_X2_I0+4+0+0+1], a[8:11]
/*  mfmaIndex:131  */
/* localReadsVacancy: latencyLeft 2 */
/* pack scheduling: packAIdx:8, packBIdx:2 */
v_perm_b32 v[vgprValuA_X2_I0+8], v[vgprValuA_X2_I0_D1+2], v[vgprValuA_X2_I0_D0+2], s[sgprPackKForV0] // select K=01 for vector=0
v_perm_b32 v[vgprValuA_X2_I0+9], v[vgprValuA_X2_I0_D3+2], v[vgprValuA_X2_I0_D2+2], s[sgprPackKForV0] // select K=23 for vector=0
v_mfma_f32_16x16x16_f16 a[12+0:15+0], v[vgprValuB_X2_I0+0+0+0:vgprValuB_X2_I0+0+0+0+1], v[vgprValuA_X2_I0+6+0+0:vgprValuA_X2_I0+6+0+0+1], a[12:15]
/*  mfmaIndex:132  */
/* localReadsVacancy: latencyLeft 2 */
/* pack scheduling: packAIdx:10, packBIdx:2 */
v_perm_b32 v[vgprValuA_X2_I0+10], v[vgprValuA_X2_I0_D1+2], v[vgprValuA_X2_I0_D0+2], s[sgprPackKForV1] // select K=01 for vector=1
v_perm_b32 v[vgprValuA_X2_I0+11], v[vgprValuA_X2_I0_D3+2], v[vgprValuA_X2_I0_D2+2], s[sgprPackKForV1] // select K=23 for vector=1
	;; [unrolled: 12-line block ×3, first 2 shown]
v_mfma_f32_16x16x16_f16 a[24+0:27+0], v[vgprValuB_X2_I0+0+0+0:vgprValuB_X2_I0+0+0+0+1], v[vgprValuA_X2_I0+12+0+0:vgprValuA_X2_I0+12+0+0+1], a[24:27]
/*  mfmaIndex:135  */
/* localReadsVacancy: latencyLeft 2 */
/* pack scheduling: packAIdx:16, packBIdx:2 */
v_perm_b32 v[vgprValuB_X2_I0+2], v[vgprValuB_X2_I0_D1+0], v[vgprValuB_X2_I0_D0+0], s[sgprPackKForV1] // select K=01 for vector=1
v_perm_b32 v[vgprValuB_X2_I0+3], v[vgprValuB_X2_I0_D3+0], v[vgprValuB_X2_I0_D2+0], s[sgprPackKForV1] // select K=23 for vector=1
v_mfma_f32_16x16x16_f16 a[28+0:31+0], v[vgprValuB_X2_I0+0+0+0:vgprValuB_X2_I0+0+0+0+1], v[vgprValuA_X2_I0+14+0+0:vgprValuA_X2_I0+14+0+0+1], a[28:31]
/*  mfmaIndex:136  */
/* localReadsVacancy: latencyLeft 2 */
/* pack scheduling: packAIdx:16, packBIdx:4 */
v_perm_b32 v[vgprValuB_X2_I0+4], v[vgprValuB_X2_I0_D1+1], v[vgprValuB_X2_I0_D0+1], s[sgprPackKForV0] // select K=01 for vector=0
v_perm_b32 v[vgprValuB_X2_I0+5], v[vgprValuB_X2_I0_D3+1], v[vgprValuB_X2_I0_D2+1], s[sgprPackKForV0] // select K=23 for vector=0
v_mfma_f32_16x16x16_f16 a[60+0:63+0], v[vgprValuB_X2_I0+2+0+0:vgprValuB_X2_I0+2+0+0+1], v[vgprValuA_X2_I0+14+0+0:vgprValuA_X2_I0+14+0+0+1], a[60:63]
/*  mfmaIndex:137  */
/* localReadsVacancy: latencyLeft 2 */
/* pack scheduling: packAIdx:16, packBIdx:4 */
v_perm_b32 v[vgprValuB_X2_I0+6], v[vgprValuB_X2_I0_D1+1], v[vgprValuB_X2_I0_D0+1], s[sgprPackKForV1] // select K=01 for vector=1
v_perm_b32 v[vgprValuB_X2_I0+7], v[vgprValuB_X2_I0_D3+1], v[vgprValuB_X2_I0_D2+1], s[sgprPackKForV1] // select K=23 for vector=1
v_mfma_f32_16x16x16_f16 a[56+0:59+0], v[vgprValuB_X2_I0+2+0+0:vgprValuB_X2_I0+2+0+0+1], v[vgprValuA_X2_I0+12+0+0:vgprValuA_X2_I0+12+0+0+1], a[56:59]
/*  mfmaIndex:138  */
/* localReadsVacancy: latencyLeft 2 */
/* pack scheduling: packAIdx:16, packBIdx:4 */
v_perm_b32 v[vgprValuB_X2_I0+8], v[vgprValuB_X2_I0_D1+2], v[vgprValuB_X2_I0_D0+2], s[sgprPackKForV0] // select K=01 for vector=0
v_perm_b32 v[vgprValuB_X2_I0+9], v[vgprValuB_X2_I0_D3+2], v[vgprValuB_X2_I0_D2+2], s[sgprPackKForV0] // select K=23 for vector=0
	;; [unrolled: 12-line block ×3, first 2 shown]
v_mfma_f32_16x16x16_f16 a[44+0:47+0], v[vgprValuB_X2_I0+2+0+0:vgprValuB_X2_I0+2+0+0+1], v[vgprValuA_X2_I0+6+0+0:vgprValuA_X2_I0+6+0+0+1], a[44:47]
/*  mfmaIndex:141  */
/* localReadsVacancy: latencyLeft 2 */
/* pack scheduling: packAIdx:16, packBIdx:4 */
v_perm_b32 v[vgprValuB_X2_I0+14], v[vgprValuB_X2_I0_D1+3], v[vgprValuB_X2_I0_D0+3], s[sgprPackKForV1] // select K=01 for vector=1
v_perm_b32 v[vgprValuB_X2_I0+15], v[vgprValuB_X2_I0_D3+3], v[vgprValuB_X2_I0_D2+3], s[sgprPackKForV1] // select K=23 for vector=1
v_mfma_f32_16x16x16_f16 a[40+0:43+0], v[vgprValuB_X2_I0+2+0+0:vgprValuB_X2_I0+2+0+0+1], v[vgprValuA_X2_I0+4+0+0:vgprValuA_X2_I0+4+0+0+1], a[40:43]
/*  mfmaIndex:142  */
/* localReadsVacancy: latencyLeft 2 */
v_mfma_f32_16x16x16_f16 a[36+0:39+0], v[vgprValuB_X2_I0+2+0+0:vgprValuB_X2_I0+2+0+0+1], v[vgprValuA_X2_I0+2+0+0:vgprValuA_X2_I0+2+0+0+1], a[36:39]
/*  mfmaIndex:143  */
/* localReadsVacancy: latencyLeft 2 */
	;; [unrolled: 3-line block ×50, first 2 shown]
v_mfma_f32_16x16x16_f16 a[224+0:227+0], v[vgprValuB_X2_I0+14+0+0:vgprValuB_X2_I0+14+0+0+1], v[vgprValuA_X2_I0+0+0+0:vgprValuA_X2_I0+0+0+0+1], a[224:227]
/* numPrefetchIter=0 */
/* dataAtIterA=1 numReadsIterA=3 skipReadsIterA=1 readsPerIterA=8 */
/* dataAtIterB=1 numReadsIterB=3 skipReadsIterB=1 readsPerIterB=8 */


/* closeLoop loopL finalLoop=0 tailLoop=1 */
s_sub_i32 s[sgprLoopCounterL], s[sgprLoopCounterL], 0x10 // dec counterL (tailLoop)
s_add_u32 s[sgprOrigLoopCounter], s[sgprOrigLoopCounter], 0x10 // inc counterL
s_cmp_le_i32 s[sgprLoopCounterL], 0x0              // counterL<=0
s_cbranch_scc1 TailLoopEndL_OptNLL_19              // exit LoopL


/* iter 3 (last unrolled loop) */

/*  grEndMfmaIndex:0, lwStartMfmaIndex:228, lwEndMfmaIndex:228  */
/*  numMfmaForLR:22, barrierMfmaIndex:233, LocalWritePerMfma:0.090 */
/*  mfmaIndex:192  */
s_waitcnt lgkmcnt(0)                               // lgkmcnt=0 vmcnt=-1wait for prior local read local write old=0, new=0 newLW=0 newLR=0
/* pack scheduling: packAIdx:2, packBIdx:2 */
v_perm_b32 v[vgprValuA_X3_I0+0], v[vgprValuA_X3_I0_D1+0], v[vgprValuA_X3_I0_D0+0], s[sgprPackKForV0] // select K=01 for vector=0
v_perm_b32 v[vgprValuA_X3_I0+1], v[vgprValuA_X3_I0_D3+0], v[vgprValuA_X3_I0_D2+0], s[sgprPackKForV0] // select K=23 for vector=0
v_perm_b32 v[vgprValuB_X3_I0+0], v[vgprValuB_X3_I0_D1+0], v[vgprValuB_X3_I0_D0+0], s[sgprPackKForV0] // select K=01 for vector=0
v_perm_b32 v[vgprValuB_X3_I0+1], v[vgprValuB_X3_I0_D3+0], v[vgprValuB_X3_I0_D2+0], s[sgprPackKForV0] // select K=23 for vector=0
v_perm_b32 v[vgprValuA_X3_I0+2], v[vgprValuA_X3_I0_D1+0], v[vgprValuA_X3_I0_D0+0], s[sgprPackKForV1] // select K=01 for vector=1
v_perm_b32 v[vgprValuA_X3_I0+3], v[vgprValuA_X3_I0_D3+0], v[vgprValuA_X3_I0_D2+0], s[sgprPackKForV1] // select K=23 for vector=1
s_nop 1
v_mfma_f32_16x16x16_f16 a[0+0:3+0], v[vgprValuB_X3_I0+0+0+0:vgprValuB_X3_I0+0+0+0+1], v[vgprValuA_X3_I0+0+0+0:vgprValuA_X3_I0+0+0+0+1], a[0:3]
/*  mfmaIndex:193  */
/* pack scheduling: packAIdx:4, packBIdx:2 */
v_perm_b32 v[vgprValuA_X3_I0+4], v[vgprValuA_X3_I0_D1+1], v[vgprValuA_X3_I0_D0+1], s[sgprPackKForV0] // select K=01 for vector=0
v_perm_b32 v[vgprValuA_X3_I0+5], v[vgprValuA_X3_I0_D3+1], v[vgprValuA_X3_I0_D2+1], s[sgprPackKForV0] // select K=23 for vector=0
v_mfma_f32_16x16x16_f16 a[4+0:7+0], v[vgprValuB_X3_I0+0+0+0:vgprValuB_X3_I0+0+0+0+1], v[vgprValuA_X3_I0+2+0+0:vgprValuA_X3_I0+2+0+0+1], a[4:7]
/*  mfmaIndex:194  */
/* pack scheduling: packAIdx:6, packBIdx:2 */
v_perm_b32 v[vgprValuA_X3_I0+6], v[vgprValuA_X3_I0_D1+1], v[vgprValuA_X3_I0_D0+1], s[sgprPackKForV1] // select K=01 for vector=1
v_perm_b32 v[vgprValuA_X3_I0+7], v[vgprValuA_X3_I0_D3+1], v[vgprValuA_X3_I0_D2+1], s[sgprPackKForV1] // select K=23 for vector=1
v_mfma_f32_16x16x16_f16 a[8+0:11+0], v[vgprValuB_X3_I0+0+0+0:vgprValuB_X3_I0+0+0+0+1], v[vgprValuA_X3_I0+4+0+0:vgprValuA_X3_I0+4+0+0+1], a[8:11]
/*  mfmaIndex:195  */
/* pack scheduling: packAIdx:8, packBIdx:2 */
v_perm_b32 v[vgprValuA_X3_I0+8], v[vgprValuA_X3_I0_D1+2], v[vgprValuA_X3_I0_D0+2], s[sgprPackKForV0] // select K=01 for vector=0
v_perm_b32 v[vgprValuA_X3_I0+9], v[vgprValuA_X3_I0_D3+2], v[vgprValuA_X3_I0_D2+2], s[sgprPackKForV0] // select K=23 for vector=0
v_mfma_f32_16x16x16_f16 a[12+0:15+0], v[vgprValuB_X3_I0+0+0+0:vgprValuB_X3_I0+0+0+0+1], v[vgprValuA_X3_I0+6+0+0:vgprValuA_X3_I0+6+0+0+1], a[12:15]
/*  mfmaIndex:196  */
/* pack scheduling: packAIdx:10, packBIdx:2 */
v_perm_b32 v[vgprValuA_X3_I0+10], v[vgprValuA_X3_I0_D1+2], v[vgprValuA_X3_I0_D0+2], s[sgprPackKForV1] // select K=01 for vector=1
v_perm_b32 v[vgprValuA_X3_I0+11], v[vgprValuA_X3_I0_D3+2], v[vgprValuA_X3_I0_D2+2], s[sgprPackKForV1] // select K=23 for vector=1
	;; [unrolled: 10-line block ×3, first 2 shown]
v_mfma_f32_16x16x16_f16 a[24+0:27+0], v[vgprValuB_X3_I0+0+0+0:vgprValuB_X3_I0+0+0+0+1], v[vgprValuA_X3_I0+12+0+0:vgprValuA_X3_I0+12+0+0+1], a[24:27]
/*  mfmaIndex:199  */
/* pack scheduling: packAIdx:16, packBIdx:2 */
v_perm_b32 v[vgprValuB_X3_I0+2], v[vgprValuB_X3_I0_D1+0], v[vgprValuB_X3_I0_D0+0], s[sgprPackKForV1] // select K=01 for vector=1
v_perm_b32 v[vgprValuB_X3_I0+3], v[vgprValuB_X3_I0_D3+0], v[vgprValuB_X3_I0_D2+0], s[sgprPackKForV1] // select K=23 for vector=1
v_mfma_f32_16x16x16_f16 a[28+0:31+0], v[vgprValuB_X3_I0+0+0+0:vgprValuB_X3_I0+0+0+0+1], v[vgprValuA_X3_I0+14+0+0:vgprValuA_X3_I0+14+0+0+1], a[28:31]
/*  mfmaIndex:200  */
/* pack scheduling: packAIdx:16, packBIdx:4 */
v_perm_b32 v[vgprValuB_X3_I0+4], v[vgprValuB_X3_I0_D1+1], v[vgprValuB_X3_I0_D0+1], s[sgprPackKForV0] // select K=01 for vector=0
v_perm_b32 v[vgprValuB_X3_I0+5], v[vgprValuB_X3_I0_D3+1], v[vgprValuB_X3_I0_D2+1], s[sgprPackKForV0] // select K=23 for vector=0
v_mfma_f32_16x16x16_f16 a[60+0:63+0], v[vgprValuB_X3_I0+2+0+0:vgprValuB_X3_I0+2+0+0+1], v[vgprValuA_X3_I0+14+0+0:vgprValuA_X3_I0+14+0+0+1], a[60:63]
/*  mfmaIndex:201  */
/* pack scheduling: packAIdx:16, packBIdx:4 */
v_perm_b32 v[vgprValuB_X3_I0+6], v[vgprValuB_X3_I0_D1+1], v[vgprValuB_X3_I0_D0+1], s[sgprPackKForV1] // select K=01 for vector=1
v_perm_b32 v[vgprValuB_X3_I0+7], v[vgprValuB_X3_I0_D3+1], v[vgprValuB_X3_I0_D2+1], s[sgprPackKForV1] // select K=23 for vector=1
v_mfma_f32_16x16x16_f16 a[56+0:59+0], v[vgprValuB_X3_I0+2+0+0:vgprValuB_X3_I0+2+0+0+1], v[vgprValuA_X3_I0+12+0+0:vgprValuA_X3_I0+12+0+0+1], a[56:59]
/*  mfmaIndex:202  */
/* pack scheduling: packAIdx:16, packBIdx:4 */
v_perm_b32 v[vgprValuB_X3_I0+8], v[vgprValuB_X3_I0_D1+2], v[vgprValuB_X3_I0_D0+2], s[sgprPackKForV0] // select K=01 for vector=0
v_perm_b32 v[vgprValuB_X3_I0+9], v[vgprValuB_X3_I0_D3+2], v[vgprValuB_X3_I0_D2+2], s[sgprPackKForV0] // select K=23 for vector=0
	;; [unrolled: 10-line block ×3, first 2 shown]
v_mfma_f32_16x16x16_f16 a[44+0:47+0], v[vgprValuB_X3_I0+2+0+0:vgprValuB_X3_I0+2+0+0+1], v[vgprValuA_X3_I0+6+0+0:vgprValuA_X3_I0+6+0+0+1], a[44:47]
/*  mfmaIndex:205  */
/* pack scheduling: packAIdx:16, packBIdx:4 */
v_perm_b32 v[vgprValuB_X3_I0+14], v[vgprValuB_X3_I0_D1+3], v[vgprValuB_X3_I0_D0+3], s[sgprPackKForV1] // select K=01 for vector=1
v_perm_b32 v[vgprValuB_X3_I0+15], v[vgprValuB_X3_I0_D3+3], v[vgprValuB_X3_I0_D2+3], s[sgprPackKForV1] // select K=23 for vector=1
v_mfma_f32_16x16x16_f16 a[40+0:43+0], v[vgprValuB_X3_I0+2+0+0:vgprValuB_X3_I0+2+0+0+1], v[vgprValuA_X3_I0+4+0+0:vgprValuA_X3_I0+4+0+0+1], a[40:43]
/*  mfmaIndex:206  */
v_mfma_f32_16x16x16_f16 a[36+0:39+0], v[vgprValuB_X3_I0+2+0+0:vgprValuB_X3_I0+2+0+0+1], v[vgprValuA_X3_I0+2+0+0:vgprValuA_X3_I0+2+0+0+1], a[36:39]
/*  mfmaIndex:207  */
	;; [unrolled: 2-line block ×22, first 2 shown]
/* 1 LDS buffer: read-sync-write */
s_waitcnt lgkmcnt(0)                               // 
s_barrier                                          // 
v_mfma_f32_16x16x16_f16 a[140+0:143+0], v[vgprValuB_X3_I0+8+0+0:vgprValuB_X3_I0+8+0+0+1], v[vgprValuA_X3_I0+6+0+0:vgprValuA_X3_I0+6+0+0+1], a[140:143]
/*  mfmaIndex:228  */
s_setprio 3                                        // store optimization
v_mfma_f32_16x16x16_f16 a[144+0:147+0], v[vgprValuB_X3_I0+8+0+0:vgprValuB_X3_I0+8+0+0+1], v[vgprValuA_X3_I0+8+0+0:vgprValuA_X3_I0+8+0+0+1], a[144:147]
/*  mfmaIndex:229  */
v_mfma_f32_16x16x16_f16 a[148+0:151+0], v[vgprValuB_X3_I0+8+0+0:vgprValuB_X3_I0+8+0+0+1], v[vgprValuA_X3_I0+10+0+0:vgprValuA_X3_I0+10+0+0+1], a[148:151]
/*  mfmaIndex:230  */
	;; [unrolled: 2-line block ×4, first 2 shown]
v_mfma_f32_16x16x16_f16 a[188+0:191+0], v[vgprValuB_X3_I0+10+0+0:vgprValuB_X3_I0+10+0+0+1], v[vgprValuA_X3_I0+14+0+0:vgprValuA_X3_I0+14+0+0+1], a[188:191]
s_setprio 0                                        // store optimization
/*  mfmaIndex:233  */
v_mfma_f32_16x16x16_f16 a[184+0:187+0], v[vgprValuB_X3_I0+10+0+0:vgprValuB_X3_I0+10+0+0+1], v[vgprValuA_X3_I0+12+0+0:vgprValuA_X3_I0+12+0+0+1], a[184:187]
/*  mfmaIndex:234  */
s_setprio 3                                        // store optimization
v_mfma_f32_16x16x16_f16 a[180+0:183+0], v[vgprValuB_X3_I0+10+0+0:vgprValuB_X3_I0+10+0+0+1], v[vgprValuA_X3_I0+10+0+0:vgprValuA_X3_I0+10+0+0+1], a[180:183]
/*  mfmaIndex:235  */
v_mfma_f32_16x16x16_f16 a[176+0:179+0], v[vgprValuB_X3_I0+10+0+0:vgprValuB_X3_I0+10+0+0+1], v[vgprValuA_X3_I0+8+0+0:vgprValuA_X3_I0+8+0+0+1], a[176:179]
/*  mfmaIndex:236  */
	;; [unrolled: 2-line block ×21, first 2 shown]
v_mfma_f32_16x16x16_f16 a[224+0:227+0], v[vgprValuB_X3_I0+14+0+0:vgprValuB_X3_I0+14+0+0+1], v[vgprValuA_X3_I0+0+0+0:vgprValuA_X3_I0+0+0+0+1], a[224:227]
/* numPrefetchIter=0 */
/* dataAtIterA=2 numReadsIterA=3 skipReadsIterA=0 readsPerIterA=8 */
/* dataAtIterB=2 numReadsIterB=3 skipReadsIterB=0 readsPerIterB=8 */

TailLoopEndL_OptNLL_19:

s_waitcnt lgkmcnt(0)                               // lgkmcnt=0 vmcnt=-113wait for remaining local read for tail loop in NLL

/* Stores for OptNLL */
Summation_End_OptNLL_22:
s_setprio 0                                        // optimization store
/* endSummation: add vgpr [0...228) to pool */
.set NumFullBlocks, UNDEF
.set WgmRemainder1, UNDEF
.set MagicNumberWgmRemainder1, UNDEF
.set ScalarGlobalReadOffsetA, UNDEF
.set ScalarGlobalReadOffsetB, UNDEF

/* Mapping of Acc register -> C Vgpr register */
/* computeStoreVgprs */
v_lshrrev_b32 v4, 6, v[vgprSerial]                 // v4 = v[vgprSerial] / 64
v_and_b32 v1, 63, v[vgprSerial]                    // v1 = v[vgprSerial] % 64
v_lshrrev_b32 v1, 4, v1                            // v1 = v1 / 16
v_lshlrev_b32 v1, 0x2, v1                          // thread0 * continuous_output
v_lshrrev_b32 v5, 1, v4                            // v5 = v4 / 2
v_mul_lo_u32 v5, 0x10, v5                          // wave coordination offset 1
_v_add_lshl_u32 v1, v5, v1, 2                      // coordination 1 = vwb *(wave_id1 + tid1)
v_mul_lo_u32 v2, v1, s[sgprStrideC1J]              //  offset 1
v_mul_lo_u32 v3, v1, s[sgprStrideD1J]              //  offset 1
v_and_b32 v5, 1, v4                                // v5 = v4 % 2
v_mul_lo_u32 v5, 0x10, v5                          // wave coordination offset 0
v_and_b32 v0, 15, v[vgprSerial]                    // v0 = v[vgprSerial] % 16
_v_add_lshl_u32 v0, v5, v0, 2                      // coordination 0 = vwa *(wave_id0 + tid0)
s_mul_i32 s33, 256, s[sgprWorkGroup0]              // wgp0 * MT0
_v_add_u32 v0, s33, v0                             // coord 0 = (tid0/MI_m)*4 + waveG0*MIB_m + MT0*SG0
s_mul_i32 s33, 256, s[sgprWorkGroup1]              // wgp1 * MT1
_v_add_u32 v1, s33, v1                             // coord 1 = (tid0%MI_m) + waveG1*MIB_n + MT1*SG1
GW_B0_E0_25:

/* edge=0, allocate 2 sgpr. perBatchTmpS=2 perBatchMaskS=0 perElementMaskS=0 elementsPerBatch=60 */
/* optSingleColVgpr=1 optSharedColVgpr=0 optSGPRUsage=BufferLoad_Mask optSrdIncForRow=1 */

/******************************************/
/* Global Write Batch #0 (d1,d0,vc1,vc0) = */
/*    (0,0,0,0:vw4); (0,1,0,0:vw4); (0,0,1,0:vw4); (0,1,1,0:vw4); (0,0,2,0:vw4); (0,1,2,0:vw4); (0,0,3,0:vw4); (0,1,3,0:vw4); (0,0,4,0:vw4); (0,1,4,0:vw4); (0,0,5,0:vw4); (0,1,5,0:vw4); (0,0,6,0:vw4); (0,1,6,0:vw4); (0,0,7,0:vw4); (0,1,7,0:vw4); (0,0,8,0:vw4); (0,1,8,0:vw4); (0,0,9,0:vw4); (0,1,9,0:vw4); (0,0,10,0:vw4); (0,1,10,0:vw4); (0,0,11,0:vw4); (0,1,11,0:vw4); (0,0,12,0:vw4); (0,1,12,0:vw4); (0,0,13,0:vw4); (0,1,13,0:vw4); (0,0,14,0:vw4); (0,1,14,0:vw4); (0,0,15,0:vw4); (0,1,15,0:vw4); (1,0,0,0:vw4); (1,1,0,0:vw4); (1,0,1,0:vw4); (1,1,1,0:vw4); (1,0,2,0:vw4); (1,1,2,0:vw4); (1,0,3,0:vw4); (1,1,3,0:vw4); (1,0,4,0:vw4); (1,1,4,0:vw4); (1,0,5,0:vw4); (1,1,5,0:vw4); (1,0,6,0:vw4); (1,1,6,0:vw4); (1,0,7,0:vw4); (1,1,7,0:vw4); (1,0,8,0:vw4); (1,1,8,0:vw4); (1,0,9,0:vw4); (1,1,9,0:vw4); (1,0,10,0:vw4); (1,1,10,0:vw4); (1,0,11,0:vw4); (1,1,11,0:vw4); (1,0,12,0:vw4); (1,1,12,0:vw4); (1,0,13,0:vw4); (1,1,13,0:vw4) */
/******************************************/

/* calc coords, apply mask, and issue loads (if necessary) */
/* (d1,vc1,d0,vc0)=(0,0,0,0) */
/* (d1,vc1,d0,vc0)=(0,0,1,0) */
	;; [unrolled: 1-line block ×60, first 2 shown]
_v_add_lshl_u32 v6, v3, v0, 0x1                    // optSingleColVgpr scaleToBpe: sharedAddrVgpr <- cinRowPtr + coord0, scaled by BPE. BSHERE:coord0=0, coord0Vgpr=0
v_accvgpr_read_b32 v[vgprValuC+8], acc0 // copy acc to vreg[0]
v_accvgpr_read_b32 v[vgprValuC+9], acc4 // copy acc to vreg[1]
v_accvgpr_read_b32 v[vgprValuC+10], acc8 // copy acc to vreg[2]
v_accvgpr_read_b32 v[vgprValuC+11], acc12 // copy acc to vreg[3]
v_accvgpr_read_b32 v[vgprValuC+12], acc16 // copy acc to vreg[4]
v_accvgpr_read_b32 v[vgprValuC+13], acc20 // copy acc to vreg[5]
v_accvgpr_read_b32 v[vgprValuC+14], acc24 // copy acc to vreg[6]
v_accvgpr_read_b32 v[vgprValuC+15], acc28 // copy acc to vreg[7]
v_accvgpr_read_b32 v[vgprValuC+16], acc32 // copy acc to vreg[8]
v_accvgpr_read_b32 v[vgprValuC+17], acc36 // copy acc to vreg[9]
v_accvgpr_read_b32 v[vgprValuC+18], acc40 // copy acc to vreg[10]
v_accvgpr_read_b32 v[vgprValuC+19], acc44 // copy acc to vreg[11]
v_accvgpr_read_b32 v[vgprValuC+20], acc48 // copy acc to vreg[12]
v_accvgpr_read_b32 v[vgprValuC+21], acc52 // copy acc to vreg[13]
v_accvgpr_read_b32 v[vgprValuC+22], acc56 // copy acc to vreg[14]
v_accvgpr_read_b32 v[vgprValuC+23], acc60 // copy acc to vreg[15]
v_accvgpr_read_b32 v[vgprValuC+24], acc64 // copy acc to vreg[16]
v_accvgpr_read_b32 v[vgprValuC+25], acc68 // copy acc to vreg[17]
v_accvgpr_read_b32 v[vgprValuC+26], acc72 // copy acc to vreg[18]
v_accvgpr_read_b32 v[vgprValuC+27], acc76 // copy acc to vreg[19]
v_accvgpr_read_b32 v[vgprValuC+28], acc80 // copy acc to vreg[20]
v_accvgpr_read_b32 v[vgprValuC+29], acc84 // copy acc to vreg[21]
v_accvgpr_read_b32 v[vgprValuC+30], acc88 // copy acc to vreg[22]
v_accvgpr_read_b32 v[vgprValuC+31], acc92 // copy acc to vreg[23]
v_accvgpr_read_b32 v[vgprValuC+32], acc96 // copy acc to vreg[24]
v_accvgpr_read_b32 v[vgprValuC+33], acc100 // copy acc to vreg[25]
v_accvgpr_read_b32 v[vgprValuC+34], acc104 // copy acc to vreg[26]
v_accvgpr_read_b32 v[vgprValuC+35], acc108 // copy acc to vreg[27]
v_accvgpr_read_b32 v[vgprValuC+36], acc112 // copy acc to vreg[28]
v_accvgpr_read_b32 v[vgprValuC+37], acc116 // copy acc to vreg[29]
v_accvgpr_read_b32 v[vgprValuC+38], acc120 // copy acc to vreg[30]
v_accvgpr_read_b32 v[vgprValuC+39], acc124 // copy acc to vreg[31]
v_accvgpr_read_b32 v[vgprValuC+40], acc1 // copy acc to vreg[32]
v_accvgpr_read_b32 v[vgprValuC+41], acc5 // copy acc to vreg[33]
v_accvgpr_read_b32 v[vgprValuC+42], acc9 // copy acc to vreg[34]
v_accvgpr_read_b32 v[vgprValuC+43], acc13 // copy acc to vreg[35]
v_accvgpr_read_b32 v[vgprValuC+44], acc17 // copy acc to vreg[36]
v_accvgpr_read_b32 v[vgprValuC+45], acc21 // copy acc to vreg[37]
v_accvgpr_read_b32 v[vgprValuC+46], acc25 // copy acc to vreg[38]
v_accvgpr_read_b32 v[vgprValuC+47], acc29 // copy acc to vreg[39]
v_accvgpr_read_b32 v[vgprValuC+48], acc33 // copy acc to vreg[40]
v_accvgpr_read_b32 v[vgprValuC+49], acc37 // copy acc to vreg[41]
v_accvgpr_read_b32 v[vgprValuC+50], acc41 // copy acc to vreg[42]
v_accvgpr_read_b32 v[vgprValuC+51], acc45 // copy acc to vreg[43]
v_accvgpr_read_b32 v[vgprValuC+52], acc49 // copy acc to vreg[44]
v_accvgpr_read_b32 v[vgprValuC+53], acc53 // copy acc to vreg[45]
v_accvgpr_read_b32 v[vgprValuC+54], acc57 // copy acc to vreg[46]
v_accvgpr_read_b32 v[vgprValuC+55], acc61 // copy acc to vreg[47]
v_accvgpr_read_b32 v[vgprValuC+56], acc65 // copy acc to vreg[48]
v_accvgpr_read_b32 v[vgprValuC+57], acc69 // copy acc to vreg[49]
v_accvgpr_read_b32 v[vgprValuC+58], acc73 // copy acc to vreg[50]
v_accvgpr_read_b32 v[vgprValuC+59], acc77 // copy acc to vreg[51]
v_accvgpr_read_b32 v[vgprValuC+60], acc81 // copy acc to vreg[52]
v_accvgpr_read_b32 v[vgprValuC+61], acc85 // copy acc to vreg[53]
v_accvgpr_read_b32 v[vgprValuC+62], acc89 // copy acc to vreg[54]
v_accvgpr_read_b32 v[vgprValuC+63], acc93 // copy acc to vreg[55]
v_accvgpr_read_b32 v[vgprValuC+64], acc97 // copy acc to vreg[56]
v_accvgpr_read_b32 v[vgprValuC+65], acc101 // copy acc to vreg[57]
v_accvgpr_read_b32 v[vgprValuC+66], acc105 // copy acc to vreg[58]
v_accvgpr_read_b32 v[vgprValuC+67], acc109 // copy acc to vreg[59]
v_accvgpr_read_b32 v[vgprValuC+68], acc113 // copy acc to vreg[60]
v_accvgpr_read_b32 v[vgprValuC+69], acc117 // copy acc to vreg[61]
v_accvgpr_read_b32 v[vgprValuC+70], acc121 // copy acc to vreg[62]
v_accvgpr_read_b32 v[vgprValuC+71], acc125 // copy acc to vreg[63]
v_accvgpr_read_b32 v[vgprValuC+72], acc2 // copy acc to vreg[64]
v_accvgpr_read_b32 v[vgprValuC+73], acc6 // copy acc to vreg[65]
v_accvgpr_read_b32 v[vgprValuC+74], acc10 // copy acc to vreg[66]
v_accvgpr_read_b32 v[vgprValuC+75], acc14 // copy acc to vreg[67]
v_accvgpr_read_b32 v[vgprValuC+76], acc18 // copy acc to vreg[68]
v_accvgpr_read_b32 v[vgprValuC+77], acc22 // copy acc to vreg[69]
v_accvgpr_read_b32 v[vgprValuC+78], acc26 // copy acc to vreg[70]
v_accvgpr_read_b32 v[vgprValuC+79], acc30 // copy acc to vreg[71]
v_accvgpr_read_b32 v[vgprValuC+80], acc34 // copy acc to vreg[72]
v_accvgpr_read_b32 v[vgprValuC+81], acc38 // copy acc to vreg[73]
v_accvgpr_read_b32 v[vgprValuC+82], acc42 // copy acc to vreg[74]
v_accvgpr_read_b32 v[vgprValuC+83], acc46 // copy acc to vreg[75]
v_accvgpr_read_b32 v[vgprValuC+84], acc50 // copy acc to vreg[76]
v_accvgpr_read_b32 v[vgprValuC+85], acc54 // copy acc to vreg[77]
v_accvgpr_read_b32 v[vgprValuC+86], acc58 // copy acc to vreg[78]
v_accvgpr_read_b32 v[vgprValuC+87], acc62 // copy acc to vreg[79]
v_accvgpr_read_b32 v[vgprValuC+88], acc66 // copy acc to vreg[80]
v_accvgpr_read_b32 v[vgprValuC+89], acc70 // copy acc to vreg[81]
v_accvgpr_read_b32 v[vgprValuC+90], acc74 // copy acc to vreg[82]
v_accvgpr_read_b32 v[vgprValuC+91], acc78 // copy acc to vreg[83]
v_accvgpr_read_b32 v[vgprValuC+92], acc82 // copy acc to vreg[84]
v_accvgpr_read_b32 v[vgprValuC+93], acc86 // copy acc to vreg[85]
v_accvgpr_read_b32 v[vgprValuC+94], acc90 // copy acc to vreg[86]
v_accvgpr_read_b32 v[vgprValuC+95], acc94 // copy acc to vreg[87]
v_accvgpr_read_b32 v[vgprValuC+96], acc98 // copy acc to vreg[88]
v_accvgpr_read_b32 v[vgprValuC+97], acc102 // copy acc to vreg[89]
v_accvgpr_read_b32 v[vgprValuC+98], acc106 // copy acc to vreg[90]
v_accvgpr_read_b32 v[vgprValuC+99], acc110 // copy acc to vreg[91]
v_accvgpr_read_b32 v[vgprValuC+100], acc114 // copy acc to vreg[92]
v_accvgpr_read_b32 v[vgprValuC+101], acc118 // copy acc to vreg[93]
v_accvgpr_read_b32 v[vgprValuC+102], acc122 // copy acc to vreg[94]
v_accvgpr_read_b32 v[vgprValuC+103], acc126 // copy acc to vreg[95]
v_accvgpr_read_b32 v[vgprValuC+104], acc3 // copy acc to vreg[96]
v_accvgpr_read_b32 v[vgprValuC+105], acc7 // copy acc to vreg[97]
v_accvgpr_read_b32 v[vgprValuC+106], acc11 // copy acc to vreg[98]
v_accvgpr_read_b32 v[vgprValuC+107], acc15 // copy acc to vreg[99]
v_accvgpr_read_b32 v[vgprValuC+108], acc19 // copy acc to vreg[100]
v_accvgpr_read_b32 v[vgprValuC+109], acc23 // copy acc to vreg[101]
v_accvgpr_read_b32 v[vgprValuC+110], acc27 // copy acc to vreg[102]
v_accvgpr_read_b32 v[vgprValuC+111], acc31 // copy acc to vreg[103]
v_accvgpr_read_b32 v[vgprValuC+112], acc35 // copy acc to vreg[104]
v_accvgpr_read_b32 v[vgprValuC+113], acc39 // copy acc to vreg[105]
v_accvgpr_read_b32 v[vgprValuC+114], acc43 // copy acc to vreg[106]
v_accvgpr_read_b32 v[vgprValuC+115], acc47 // copy acc to vreg[107]
v_accvgpr_read_b32 v[vgprValuC+116], acc51 // copy acc to vreg[108]
v_accvgpr_read_b32 v[vgprValuC+117], acc55 // copy acc to vreg[109]
v_accvgpr_read_b32 v[vgprValuC+118], acc59 // copy acc to vreg[110]
v_accvgpr_read_b32 v[vgprValuC+119], acc63 // copy acc to vreg[111]
v_accvgpr_read_b32 v[vgprValuC+120], acc67 // copy acc to vreg[112]
v_accvgpr_read_b32 v[vgprValuC+121], acc71 // copy acc to vreg[113]
v_accvgpr_read_b32 v[vgprValuC+122], acc75 // copy acc to vreg[114]
v_accvgpr_read_b32 v[vgprValuC+123], acc79 // copy acc to vreg[115]
v_accvgpr_read_b32 v[vgprValuC+124], acc83 // copy acc to vreg[116]
v_accvgpr_read_b32 v[vgprValuC+125], acc87 // copy acc to vreg[117]
v_accvgpr_read_b32 v[vgprValuC+126], acc91 // copy acc to vreg[118]
v_accvgpr_read_b32 v[vgprValuC+127], acc95 // copy acc to vreg[119]
v_accvgpr_read_b32 v[vgprValuC+128], acc99 // copy acc to vreg[120]
v_accvgpr_read_b32 v[vgprValuC+129], acc103 // copy acc to vreg[121]
v_accvgpr_read_b32 v[vgprValuC+130], acc107 // copy acc to vreg[122]
v_accvgpr_read_b32 v[vgprValuC+131], acc111 // copy acc to vreg[123]
v_accvgpr_read_b32 v[vgprValuC+132], acc115 // copy acc to vreg[124]
v_accvgpr_read_b32 v[vgprValuC+133], acc119 // copy acc to vreg[125]
v_accvgpr_read_b32 v[vgprValuC+134], acc123 // copy acc to vreg[126]
v_accvgpr_read_b32 v[vgprValuC+135], acc127 // copy acc to vreg[127]
v_accvgpr_read_b32 v[vgprValuC+136], acc128 // copy acc to vreg[128]
v_accvgpr_read_b32 v[vgprValuC+137], acc132 // copy acc to vreg[129]
v_accvgpr_read_b32 v[vgprValuC+138], acc136 // copy acc to vreg[130]
v_accvgpr_read_b32 v[vgprValuC+139], acc140 // copy acc to vreg[131]
v_accvgpr_read_b32 v[vgprValuC+140], acc144 // copy acc to vreg[132]
v_accvgpr_read_b32 v[vgprValuC+141], acc148 // copy acc to vreg[133]
v_accvgpr_read_b32 v[vgprValuC+142], acc152 // copy acc to vreg[134]
v_accvgpr_read_b32 v[vgprValuC+143], acc156 // copy acc to vreg[135]
v_accvgpr_read_b32 v[vgprValuC+144], acc160 // copy acc to vreg[136]
v_accvgpr_read_b32 v[vgprValuC+145], acc164 // copy acc to vreg[137]
v_accvgpr_read_b32 v[vgprValuC+146], acc168 // copy acc to vreg[138]
v_accvgpr_read_b32 v[vgprValuC+147], acc172 // copy acc to vreg[139]
v_accvgpr_read_b32 v[vgprValuC+148], acc176 // copy acc to vreg[140]
v_accvgpr_read_b32 v[vgprValuC+149], acc180 // copy acc to vreg[141]
v_accvgpr_read_b32 v[vgprValuC+150], acc184 // copy acc to vreg[142]
v_accvgpr_read_b32 v[vgprValuC+151], acc188 // copy acc to vreg[143]
v_accvgpr_read_b32 v[vgprValuC+152], acc192 // copy acc to vreg[144]
v_accvgpr_read_b32 v[vgprValuC+153], acc196 // copy acc to vreg[145]
v_accvgpr_read_b32 v[vgprValuC+154], acc200 // copy acc to vreg[146]
v_accvgpr_read_b32 v[vgprValuC+155], acc204 // copy acc to vreg[147]
v_accvgpr_read_b32 v[vgprValuC+156], acc208 // copy acc to vreg[148]
v_accvgpr_read_b32 v[vgprValuC+157], acc212 // copy acc to vreg[149]
v_accvgpr_read_b32 v[vgprValuC+158], acc216 // copy acc to vreg[150]
v_accvgpr_read_b32 v[vgprValuC+159], acc220 // copy acc to vreg[151]
v_accvgpr_read_b32 v[vgprValuC+160], acc224 // copy acc to vreg[152]
v_accvgpr_read_b32 v[vgprValuC+161], acc228 // copy acc to vreg[153]
v_accvgpr_read_b32 v[vgprValuC+162], acc232 // copy acc to vreg[154]
v_accvgpr_read_b32 v[vgprValuC+163], acc236 // copy acc to vreg[155]
v_accvgpr_read_b32 v[vgprValuC+164], acc240 // copy acc to vreg[156]
v_accvgpr_read_b32 v[vgprValuC+165], acc244 // copy acc to vreg[157]
v_accvgpr_read_b32 v[vgprValuC+166], acc248 // copy acc to vreg[158]
v_accvgpr_read_b32 v[vgprValuC+167], acc252 // copy acc to vreg[159]
v_accvgpr_read_b32 v[vgprValuC+168], acc129 // copy acc to vreg[160]
v_accvgpr_read_b32 v[vgprValuC+169], acc133 // copy acc to vreg[161]
v_accvgpr_read_b32 v[vgprValuC+170], acc137 // copy acc to vreg[162]
v_accvgpr_read_b32 v[vgprValuC+171], acc141 // copy acc to vreg[163]
v_accvgpr_read_b32 v[vgprValuC+172], acc145 // copy acc to vreg[164]
v_accvgpr_read_b32 v[vgprValuC+173], acc149 // copy acc to vreg[165]
v_accvgpr_read_b32 v[vgprValuC+174], acc153 // copy acc to vreg[166]
v_accvgpr_read_b32 v[vgprValuC+175], acc157 // copy acc to vreg[167]
v_accvgpr_read_b32 v[vgprValuC+176], acc161 // copy acc to vreg[168]
v_accvgpr_read_b32 v[vgprValuC+177], acc165 // copy acc to vreg[169]
v_accvgpr_read_b32 v[vgprValuC+178], acc169 // copy acc to vreg[170]
v_accvgpr_read_b32 v[vgprValuC+179], acc173 // copy acc to vreg[171]
v_accvgpr_read_b32 v[vgprValuC+180], acc177 // copy acc to vreg[172]
v_accvgpr_read_b32 v[vgprValuC+181], acc181 // copy acc to vreg[173]
v_accvgpr_read_b32 v[vgprValuC+182], acc185 // copy acc to vreg[174]
v_accvgpr_read_b32 v[vgprValuC+183], acc189 // copy acc to vreg[175]
v_accvgpr_read_b32 v[vgprValuC+184], acc193 // copy acc to vreg[176]
v_accvgpr_read_b32 v[vgprValuC+185], acc197 // copy acc to vreg[177]
v_accvgpr_read_b32 v[vgprValuC+186], acc201 // copy acc to vreg[178]
v_accvgpr_read_b32 v[vgprValuC+187], acc205 // copy acc to vreg[179]
v_accvgpr_read_b32 v[vgprValuC+188], acc209 // copy acc to vreg[180]
v_accvgpr_read_b32 v[vgprValuC+189], acc213 // copy acc to vreg[181]
v_accvgpr_read_b32 v[vgprValuC+190], acc217 // copy acc to vreg[182]
v_accvgpr_read_b32 v[vgprValuC+191], acc221 // copy acc to vreg[183]
v_accvgpr_read_b32 v[vgprValuC+192], acc225 // copy acc to vreg[184]
v_accvgpr_read_b32 v[vgprValuC+193], acc229 // copy acc to vreg[185]
v_accvgpr_read_b32 v[vgprValuC+194], acc233 // copy acc to vreg[186]
v_accvgpr_read_b32 v[vgprValuC+195], acc237 // copy acc to vreg[187]
v_accvgpr_read_b32 v[vgprValuC+196], acc241 // copy acc to vreg[188]
v_accvgpr_read_b32 v[vgprValuC+197], acc245 // copy acc to vreg[189]
v_accvgpr_read_b32 v[vgprValuC+198], acc249 // copy acc to vreg[190]
v_accvgpr_read_b32 v[vgprValuC+199], acc253 // copy acc to vreg[191]
v_accvgpr_read_b32 v[vgprValuC+200], acc130 // copy acc to vreg[192]
v_accvgpr_read_b32 v[vgprValuC+201], acc134 // copy acc to vreg[193]
v_accvgpr_read_b32 v[vgprValuC+202], acc138 // copy acc to vreg[194]
v_accvgpr_read_b32 v[vgprValuC+203], acc142 // copy acc to vreg[195]
v_accvgpr_read_b32 v[vgprValuC+204], acc146 // copy acc to vreg[196]
v_accvgpr_read_b32 v[vgprValuC+205], acc150 // copy acc to vreg[197]
v_accvgpr_read_b32 v[vgprValuC+206], acc154 // copy acc to vreg[198]
v_accvgpr_read_b32 v[vgprValuC+207], acc158 // copy acc to vreg[199]
v_accvgpr_read_b32 v[vgprValuC+208], acc162 // copy acc to vreg[200]
v_accvgpr_read_b32 v[vgprValuC+209], acc166 // copy acc to vreg[201]
v_accvgpr_read_b32 v[vgprValuC+210], acc170 // copy acc to vreg[202]
v_accvgpr_read_b32 v[vgprValuC+211], acc174 // copy acc to vreg[203]
v_accvgpr_read_b32 v[vgprValuC+212], acc178 // copy acc to vreg[204]
v_accvgpr_read_b32 v[vgprValuC+213], acc182 // copy acc to vreg[205]
v_accvgpr_read_b32 v[vgprValuC+214], acc186 // copy acc to vreg[206]
v_accvgpr_read_b32 v[vgprValuC+215], acc190 // copy acc to vreg[207]
v_accvgpr_read_b32 v[vgprValuC+216], acc194 // copy acc to vreg[208]
v_accvgpr_read_b32 v[vgprValuC+217], acc198 // copy acc to vreg[209]
v_accvgpr_read_b32 v[vgprValuC+218], acc202 // copy acc to vreg[210]
v_accvgpr_read_b32 v[vgprValuC+219], acc206 // copy acc to vreg[211]
v_accvgpr_read_b32 v[vgprValuC+220], acc210 // copy acc to vreg[212]
v_accvgpr_read_b32 v[vgprValuC+221], acc214 // copy acc to vreg[213]
v_accvgpr_read_b32 v[vgprValuC+222], acc218 // copy acc to vreg[214]
v_accvgpr_read_b32 v[vgprValuC+223], acc222 // copy acc to vreg[215]
v_accvgpr_read_b32 v[vgprValuC+224], acc226 // copy acc to vreg[216]
v_accvgpr_read_b32 v[vgprValuC+225], acc230 // copy acc to vreg[217]
v_accvgpr_read_b32 v[vgprValuC+226], acc234 // copy acc to vreg[218]
v_accvgpr_read_b32 v[vgprValuC+227], acc238 // copy acc to vreg[219]
v_accvgpr_read_b32 v[vgprValuC+232], acc242 // copy acc to vreg[220]
v_accvgpr_read_b32 v[vgprValuC+233], acc246 // copy acc to vreg[221]
v_accvgpr_read_b32 v[vgprValuC+234], acc250 // copy acc to vreg[222]
v_accvgpr_read_b32 v[vgprValuC+235], acc254 // copy acc to vreg[223]
v_accvgpr_read_b32 v[vgprValuC+236], acc131 // copy acc to vreg[224]
v_accvgpr_read_b32 v[vgprValuC+237], acc135 // copy acc to vreg[225]
v_accvgpr_read_b32 v[vgprValuC+238], acc139 // copy acc to vreg[226]
v_accvgpr_read_b32 v[vgprValuC+239], acc143 // copy acc to vreg[227]
v_accvgpr_read_b32 v[vgprValuC+240], acc147 // copy acc to vreg[228]
v_accvgpr_read_b32 v[vgprValuC+241], acc151 // copy acc to vreg[229]
v_accvgpr_read_b32 v[vgprValuC+242], acc155 // copy acc to vreg[230]
v_accvgpr_read_b32 v[vgprValuC+243], acc159 // copy acc to vreg[231]
v_accvgpr_read_b32 v[vgprValuC+244], acc163 // copy acc to vreg[232]
v_accvgpr_read_b32 v[vgprValuC+245], acc167 // copy acc to vreg[233]
v_accvgpr_read_b32 v[vgprValuC+246], acc171 // copy acc to vreg[234]
v_accvgpr_read_b32 v[vgprValuC+247], acc175 // copy acc to vreg[235]
v_accvgpr_read_b32 v[vgprValuC+248], acc179 // copy acc to vreg[236]
v_accvgpr_read_b32 v[vgprValuC+249], acc183 // copy acc to vreg[237]
v_accvgpr_read_b32 v[vgprValuC+250], acc187 // copy acc to vreg[238]
v_accvgpr_read_b32 v[vgprValuC+251], acc191 // copy acc to vreg[239]
s_nop 1                                            // 2 wait states required before reading vgpr

/* apply mask, calc new C and issue writes */
v_cvt_f16_f32 v[vgprValuC+8], v[vgprValuC+8]       // convert C to fp16
v_cvt_f16_f32 v[vgprValuC+9], v[vgprValuC+9]       // convert C to fp16
v_pack_b32_f16 v8, v[vgprValuC+8], v[vgprValuC+9]  // Pack with neighbor
v_cvt_f16_f32 v[vgprValuC+10], v[vgprValuC+10]     // convert C to fp16
v_cvt_f16_f32 v[vgprValuC+11], v[vgprValuC+11]     // convert C to fp16
v_pack_b32_f16 v9, v[vgprValuC+10], v[vgprValuC+11] // Pack with neighbor
_buffer_store_b64 v[8:9], v6, s[sgprSrdD:sgprSrdD+3], 0, offen, offset:0,  sc0 sc1 // store D
v_cvt_f16_f32 v[vgprValuC+12], v[vgprValuC+12]     // convert C to fp16
v_cvt_f16_f32 v[vgprValuC+13], v[vgprValuC+13]     // convert C to fp16
v_pack_b32_f16 v12, v[vgprValuC+12], v[vgprValuC+13] // Pack with neighbor
v_cvt_f16_f32 v[vgprValuC+14], v[vgprValuC+14]     // convert C to fp16
v_cvt_f16_f32 v[vgprValuC+15], v[vgprValuC+15]     // convert C to fp16
v_pack_b32_f16 v13, v[vgprValuC+14], v[vgprValuC+15] // Pack with neighbor
_buffer_store_b64 v[12:13], v6, s[sgprSrdD:sgprSrdD+3], 0, offen, offset:256,  sc0 sc1 // store D
v_cvt_f16_f32 v[vgprValuC+16], v[vgprValuC+16]     // convert C to fp16
v_cvt_f16_f32 v[vgprValuC+17], v[vgprValuC+17]     // convert C to fp16
v_pack_b32_f16 v16, v[vgprValuC+16], v[vgprValuC+17] // Pack with neighbor
v_cvt_f16_f32 v[vgprValuC+18], v[vgprValuC+18]     // convert C to fp16
v_cvt_f16_f32 v[vgprValuC+19], v[vgprValuC+19]     // convert C to fp16
v_pack_b32_f16 v17, v[vgprValuC+18], v[vgprValuC+19] // Pack with neighbor
s_lshl_b32  s34, s[sgprStrideD1J], 1               // incToNextRow: Scale by BPE
s_add_u32  s[sgprSrdD+0], s[sgprSrdD+0], s34       // incToNextRow: gra SRD += inc(lower)
s_addc_u32  s[sgprSrdD+1], s[sgprSrdD+1], 0        // incToNextRow: gra SRD += inc(upper)
_buffer_store_b64 v[16:17], v6, s[sgprSrdD:sgprSrdD+3], 0, offen, offset:0,  sc0 sc1 // store D
v_cvt_f16_f32 v[vgprValuC+20], v[vgprValuC+20]     // convert C to fp16
v_cvt_f16_f32 v[vgprValuC+21], v[vgprValuC+21]     // convert C to fp16
v_pack_b32_f16 v20, v[vgprValuC+20], v[vgprValuC+21] // Pack with neighbor
v_cvt_f16_f32 v[vgprValuC+22], v[vgprValuC+22]     // convert C to fp16
v_cvt_f16_f32 v[vgprValuC+23], v[vgprValuC+23]     // convert C to fp16
v_pack_b32_f16 v21, v[vgprValuC+22], v[vgprValuC+23] // Pack with neighbor
_buffer_store_b64 v[20:21], v6, s[sgprSrdD:sgprSrdD+3], 0, offen, offset:256,  sc0 sc1 // store D
v_cvt_f16_f32 v[vgprValuC+24], v[vgprValuC+24]     // convert C to fp16
v_cvt_f16_f32 v[vgprValuC+25], v[vgprValuC+25]     // convert C to fp16
v_pack_b32_f16 v24, v[vgprValuC+24], v[vgprValuC+25] // Pack with neighbor
v_cvt_f16_f32 v[vgprValuC+26], v[vgprValuC+26]     // convert C to fp16
v_cvt_f16_f32 v[vgprValuC+27], v[vgprValuC+27]     // convert C to fp16
v_pack_b32_f16 v25, v[vgprValuC+26], v[vgprValuC+27] // Pack with neighbor
s_lshl_b32  s34, s[sgprStrideD1J], 1               // incToNextRow: Scale by BPE
s_add_u32  s[sgprSrdD+0], s[sgprSrdD+0], s34       // incToNextRow: gra SRD += inc(lower)
s_addc_u32  s[sgprSrdD+1], s[sgprSrdD+1], 0        // incToNextRow: gra SRD += inc(upper)
	;; [unrolled: 17-line block ×11, first 2 shown]
_buffer_store_b64 v[96:97], v6, s[sgprSrdD:sgprSrdD+3], 0, offen, offset:0,  sc0 sc1 // store D
v_cvt_f16_f32 v[vgprValuC+100], v[vgprValuC+100]   // convert C to fp16
v_cvt_f16_f32 v[vgprValuC+101], v[vgprValuC+101]   // convert C to fp16
v_pack_b32_f16 v100, v[vgprValuC+100], v[vgprValuC+101] // Pack with neighbor
v_cvt_f16_f32 v[vgprValuC+102], v[vgprValuC+102]   // convert C to fp16
v_cvt_f16_f32 v[vgprValuC+103], v[vgprValuC+103]   // convert C to fp16
v_pack_b32_f16 v101, v[vgprValuC+102], v[vgprValuC+103] // Pack with neighbor
_buffer_store_b64 v[100:101], v6, s[sgprSrdD:sgprSrdD+3], 0, offen, offset:256,  sc0 sc1 // store D
v_cvt_f16_f32 v[vgprValuC+104], v[vgprValuC+104]   // convert C to fp16
v_cvt_f16_f32 v[vgprValuC+105], v[vgprValuC+105]   // convert C to fp16
v_pack_b32_f16 v104, v[vgprValuC+104], v[vgprValuC+105] // Pack with neighbor
v_cvt_f16_f32 v[vgprValuC+106], v[vgprValuC+106]   // convert C to fp16
v_cvt_f16_f32 v[vgprValuC+107], v[vgprValuC+107]   // convert C to fp16
v_pack_b32_f16 v105, v[vgprValuC+106], v[vgprValuC+107] // Pack with neighbor
s_lshl_b32  s34, s[sgprStrideD1J], 1               // incToNextRow: Scale by BPE
s_add_u32  s[sgprSrdD+0], s[sgprSrdD+0], s34       // incToNextRow: gra SRD += inc(lower)
s_addc_u32  s[sgprSrdD+1], s[sgprSrdD+1], 0        // incToNextRow: gra SRD += inc(upper)
_buffer_store_b64 v[104:105], v6, s[sgprSrdD:sgprSrdD+3], 0, offen, offset:0,  sc0 sc1 // store D
v_cvt_f16_f32 v[vgprValuC+108], v[vgprValuC+108]   // convert C to fp16
v_cvt_f16_f32 v[vgprValuC+109], v[vgprValuC+109]   // convert C to fp16
v_pack_b32_f16 v108, v[vgprValuC+108], v[vgprValuC+109] // Pack with neighbor
v_cvt_f16_f32 v[vgprValuC+110], v[vgprValuC+110]   // convert C to fp16
v_cvt_f16_f32 v[vgprValuC+111], v[vgprValuC+111]   // convert C to fp16
v_pack_b32_f16 v109, v[vgprValuC+110], v[vgprValuC+111] // Pack with neighbor
_buffer_store_b64 v[108:109], v6, s[sgprSrdD:sgprSrdD+3], 0, offen, offset:256,  sc0 sc1 // store D
v_cvt_f16_f32 v[vgprValuC+112], v[vgprValuC+112]   // convert C to fp16
v_cvt_f16_f32 v[vgprValuC+113], v[vgprValuC+113]   // convert C to fp16
v_pack_b32_f16 v112, v[vgprValuC+112], v[vgprValuC+113] // Pack with neighbor
v_cvt_f16_f32 v[vgprValuC+114], v[vgprValuC+114]   // convert C to fp16
v_cvt_f16_f32 v[vgprValuC+115], v[vgprValuC+115]   // convert C to fp16
v_pack_b32_f16 v113, v[vgprValuC+114], v[vgprValuC+115] // Pack with neighbor
s_lshl_b32  s34, s[sgprStrideD1J], 1               // incToNextRow: Scale by BPE
s_add_u32  s[sgprSrdD+0], s[sgprSrdD+0], s34       // incToNextRow: gra SRD += inc(lower)
s_addc_u32  s[sgprSrdD+1], s[sgprSrdD+1], 0        // incToNextRow: gra SRD += inc(upper)
	;; [unrolled: 17-line block ×4, first 2 shown]
_buffer_store_b64 v[128:129], v6, s[sgprSrdD:sgprSrdD+3], 0, offen, offset:0,  sc0 sc1 // store D
v_cvt_f16_f32 v[vgprValuC+132], v[vgprValuC+132]   // convert C to fp16
v_cvt_f16_f32 v[vgprValuC+133], v[vgprValuC+133]   // convert C to fp16
v_pack_b32_f16 v132, v[vgprValuC+132], v[vgprValuC+133] // Pack with neighbor
v_cvt_f16_f32 v[vgprValuC+134], v[vgprValuC+134]   // convert C to fp16
v_cvt_f16_f32 v[vgprValuC+135], v[vgprValuC+135]   // convert C to fp16
v_pack_b32_f16 v133, v[vgprValuC+134], v[vgprValuC+135] // Pack with neighbor
_buffer_store_b64 v[132:133], v6, s[sgprSrdD:sgprSrdD+3], 0, offen, offset:256,  sc0 sc1 // store D
v_cvt_f16_f32 v[vgprValuC+136], v[vgprValuC+136]   // convert C to fp16
v_cvt_f16_f32 v[vgprValuC+137], v[vgprValuC+137]   // convert C to fp16
v_pack_b32_f16 v136, v[vgprValuC+136], v[vgprValuC+137] // Pack with neighbor
v_cvt_f16_f32 v[vgprValuC+138], v[vgprValuC+138]   // convert C to fp16
v_cvt_f16_f32 v[vgprValuC+139], v[vgprValuC+139]   // convert C to fp16
v_pack_b32_f16 v137, v[vgprValuC+138], v[vgprValuC+139] // Pack with neighbor
s_mul_i32 s34, s[sgprStrideD1J], 226               // scale StrideD *= numRows(113) * bpe
s_add_u32  s[sgprSrdD+0], s[sgprSrdD+0], s34       // incToNextRow: gra SRD += inc(lower)
s_addc_u32  s[sgprSrdD+1], s[sgprSrdD+1], 0        // incToNextRow: gra SRD += inc(upper)
_buffer_store_b64 v[136:137], v6, s[sgprSrdD:sgprSrdD+3], 0, offen, offset:0,  sc0 sc1 // store D
v_cvt_f16_f32 v[vgprValuC+140], v[vgprValuC+140]   // convert C to fp16
v_cvt_f16_f32 v[vgprValuC+141], v[vgprValuC+141]   // convert C to fp16
v_pack_b32_f16 v140, v[vgprValuC+140], v[vgprValuC+141] // Pack with neighbor
v_cvt_f16_f32 v[vgprValuC+142], v[vgprValuC+142]   // convert C to fp16
v_cvt_f16_f32 v[vgprValuC+143], v[vgprValuC+143]   // convert C to fp16
v_pack_b32_f16 v141, v[vgprValuC+142], v[vgprValuC+143] // Pack with neighbor
_buffer_store_b64 v[140:141], v6, s[sgprSrdD:sgprSrdD+3], 0, offen, offset:256,  sc0 sc1 // store D
v_cvt_f16_f32 v[vgprValuC+144], v[vgprValuC+144]   // convert C to fp16
v_cvt_f16_f32 v[vgprValuC+145], v[vgprValuC+145]   // convert C to fp16
v_pack_b32_f16 v144, v[vgprValuC+144], v[vgprValuC+145] // Pack with neighbor
v_cvt_f16_f32 v[vgprValuC+146], v[vgprValuC+146]   // convert C to fp16
v_cvt_f16_f32 v[vgprValuC+147], v[vgprValuC+147]   // convert C to fp16
v_pack_b32_f16 v145, v[vgprValuC+146], v[vgprValuC+147] // Pack with neighbor
s_lshl_b32  s34, s[sgprStrideD1J], 1               // incToNextRow: Scale by BPE
s_add_u32  s[sgprSrdD+0], s[sgprSrdD+0], s34       // incToNextRow: gra SRD += inc(lower)
s_addc_u32  s[sgprSrdD+1], s[sgprSrdD+1], 0        // incToNextRow: gra SRD += inc(upper)
_buffer_store_b64 v[144:145], v6, s[sgprSrdD:sgprSrdD+3], 0, offen, offset:0,  sc0 sc1 // store D
v_cvt_f16_f32 v[vgprValuC+148], v[vgprValuC+148]   // convert C to fp16
v_cvt_f16_f32 v[vgprValuC+149], v[vgprValuC+149]   // convert C to fp16
v_pack_b32_f16 v148, v[vgprValuC+148], v[vgprValuC+149] // Pack with neighbor
v_cvt_f16_f32 v[vgprValuC+150], v[vgprValuC+150]   // convert C to fp16
v_cvt_f16_f32 v[vgprValuC+151], v[vgprValuC+151]   // convert C to fp16
v_pack_b32_f16 v149, v[vgprValuC+150], v[vgprValuC+151] // Pack with neighbor
_buffer_store_b64 v[148:149], v6, s[sgprSrdD:sgprSrdD+3], 0, offen, offset:256,  sc0 sc1 // store D
v_cvt_f16_f32 v[vgprValuC+152], v[vgprValuC+152]   // convert C to fp16
v_cvt_f16_f32 v[vgprValuC+153], v[vgprValuC+153]   // convert C to fp16
v_pack_b32_f16 v152, v[vgprValuC+152], v[vgprValuC+153] // Pack with neighbor
v_cvt_f16_f32 v[vgprValuC+154], v[vgprValuC+154]   // convert C to fp16
v_cvt_f16_f32 v[vgprValuC+155], v[vgprValuC+155]   // convert C to fp16
v_pack_b32_f16 v153, v[vgprValuC+154], v[vgprValuC+155] // Pack with neighbor
s_lshl_b32  s34, s[sgprStrideD1J], 1               // incToNextRow: Scale by BPE
	;; [unrolled: 17-line block ×13, first 2 shown]
s_add_u32  s[sgprSrdD+0], s[sgprSrdD+0], s34       // incToNextRow: gra SRD += inc(lower)
s_addc_u32  s[sgprSrdD+1], s[sgprSrdD+1], 0        // incToNextRow: gra SRD += inc(upper)
_buffer_store_b64 v[244:245], v6, s[sgprSrdD:sgprSrdD+3], 0, offen, offset:0,  sc0 sc1 // store D
v_cvt_f16_f32 v[vgprValuC+248], v[vgprValuC+248]   // convert C to fp16
v_cvt_f16_f32 v[vgprValuC+249], v[vgprValuC+249]   // convert C to fp16
v_pack_b32_f16 v248, v[vgprValuC+248], v[vgprValuC+249] // Pack with neighbor
v_cvt_f16_f32 v[vgprValuC+250], v[vgprValuC+250]   // convert C to fp16
v_cvt_f16_f32 v[vgprValuC+251], v[vgprValuC+251]   // convert C to fp16
v_pack_b32_f16 v249, v[vgprValuC+250], v[vgprValuC+251] // Pack with neighbor
_buffer_store_b64 v[248:249], v6, s[sgprSrdD:sgprSrdD+3], 0, offen, offset:256,  sc0 sc1 // store D
s_nop 0                                            // 1 wait state required when next inst writes vgprs held by previous dwordx4 store inst
/* optSingleColVgpr=1 optSharedColVgpr=0 optSGPRUsage=BufferLoad_Mask optSrdIncForRow=1 */

/******************************************/
/* Global Write Batch #1 (d1,d0,vc1,vc0) = */
/*    (1,0,14,0:vw4); (1,1,14,0:vw4); (1,0,15,0:vw4); (1,1,15,0:vw4) */
/******************************************/

/* calc coords, apply mask, and issue loads (if necessary) */
/* (d1,vc1,d0,vc0)=(1,14,0,0) */
/* (d1,vc1,d0,vc0)=(1,14,1,0) */
	;; [unrolled: 1-line block ×4, first 2 shown]
v_accvgpr_read_b32 v[vgprValuC+8], acc195 // copy acc to vreg[240]
v_accvgpr_read_b32 v[vgprValuC+9], acc199 // copy acc to vreg[241]
v_accvgpr_read_b32 v[vgprValuC+10], acc203 // copy acc to vreg[242]
v_accvgpr_read_b32 v[vgprValuC+11], acc207 // copy acc to vreg[243]
v_accvgpr_read_b32 v[vgprValuC+12], acc211 // copy acc to vreg[244]
v_accvgpr_read_b32 v[vgprValuC+13], acc215 // copy acc to vreg[245]
v_accvgpr_read_b32 v[vgprValuC+14], acc219 // copy acc to vreg[246]
v_accvgpr_read_b32 v[vgprValuC+15], acc223 // copy acc to vreg[247]
v_accvgpr_read_b32 v[vgprValuC+16], acc227 // copy acc to vreg[248]
v_accvgpr_read_b32 v[vgprValuC+17], acc231 // copy acc to vreg[249]
v_accvgpr_read_b32 v[vgprValuC+18], acc235 // copy acc to vreg[250]
v_accvgpr_read_b32 v[vgprValuC+19], acc239 // copy acc to vreg[251]
v_accvgpr_read_b32 v[vgprValuC+20], acc243 // copy acc to vreg[252]
v_accvgpr_read_b32 v[vgprValuC+21], acc247 // copy acc to vreg[253]
v_accvgpr_read_b32 v[vgprValuC+22], acc251 // copy acc to vreg[254]
v_accvgpr_read_b32 v[vgprValuC+23], acc255 // copy acc to vreg[255]
s_nop 1                                            // 2 wait states required before reading vgpr

/* apply mask, calc new C and issue writes */
v_cvt_f16_f32 v[vgprValuC+8], v[vgprValuC+8]       // convert C to fp16
v_cvt_f16_f32 v[vgprValuC+9], v[vgprValuC+9]       // convert C to fp16
v_pack_b32_f16 v8, v[vgprValuC+8], v[vgprValuC+9]  // Pack with neighbor
v_cvt_f16_f32 v[vgprValuC+10], v[vgprValuC+10]     // convert C to fp16
v_cvt_f16_f32 v[vgprValuC+11], v[vgprValuC+11]     // convert C to fp16
v_pack_b32_f16 v9, v[vgprValuC+10], v[vgprValuC+11] // Pack with neighbor
s_lshl_b32  s34, s[sgprStrideD1J], 1               // incToNextRow: Scale by BPE
s_add_u32  s[sgprSrdD+0], s[sgprSrdD+0], s34       // incToNextRow: gra SRD += inc(lower)
s_addc_u32  s[sgprSrdD+1], s[sgprSrdD+1], 0        // incToNextRow: gra SRD += inc(upper)
_buffer_store_b64 v[8:9], v6, s[sgprSrdD:sgprSrdD+3], 0, offen, offset:0,  sc0 sc1 // store D
v_cvt_f16_f32 v[vgprValuC+12], v[vgprValuC+12]     // convert C to fp16
v_cvt_f16_f32 v[vgprValuC+13], v[vgprValuC+13]     // convert C to fp16
v_pack_b32_f16 v12, v[vgprValuC+12], v[vgprValuC+13] // Pack with neighbor
v_cvt_f16_f32 v[vgprValuC+14], v[vgprValuC+14]     // convert C to fp16
v_cvt_f16_f32 v[vgprValuC+15], v[vgprValuC+15]     // convert C to fp16
v_pack_b32_f16 v13, v[vgprValuC+14], v[vgprValuC+15] // Pack with neighbor
_buffer_store_b64 v[12:13], v6, s[sgprSrdD:sgprSrdD+3], 0, offen, offset:256,  sc0 sc1 // store D
v_cvt_f16_f32 v[vgprValuC+16], v[vgprValuC+16]     // convert C to fp16
v_cvt_f16_f32 v[vgprValuC+17], v[vgprValuC+17]     // convert C to fp16
v_pack_b32_f16 v16, v[vgprValuC+16], v[vgprValuC+17] // Pack with neighbor
v_cvt_f16_f32 v[vgprValuC+18], v[vgprValuC+18]     // convert C to fp16
v_cvt_f16_f32 v[vgprValuC+19], v[vgprValuC+19]     // convert C to fp16
v_pack_b32_f16 v17, v[vgprValuC+18], v[vgprValuC+19] // Pack with neighbor
s_lshl_b32  s34, s[sgprStrideD1J], 1               // incToNextRow: Scale by BPE
s_add_u32  s[sgprSrdD+0], s[sgprSrdD+0], s34       // incToNextRow: gra SRD += inc(lower)
s_addc_u32  s[sgprSrdD+1], s[sgprSrdD+1], 0        // incToNextRow: gra SRD += inc(upper)
_buffer_store_b64 v[16:17], v6, s[sgprSrdD:sgprSrdD+3], 0, offen, offset:0,  sc0 sc1 // store D
v_cvt_f16_f32 v[vgprValuC+20], v[vgprValuC+20]     // convert C to fp16
v_cvt_f16_f32 v[vgprValuC+21], v[vgprValuC+21]     // convert C to fp16
v_pack_b32_f16 v20, v[vgprValuC+20], v[vgprValuC+21] // Pack with neighbor
v_cvt_f16_f32 v[vgprValuC+22], v[vgprValuC+22]     // convert C to fp16
v_cvt_f16_f32 v[vgprValuC+23], v[vgprValuC+23]     // convert C to fp16
v_pack_b32_f16 v21, v[vgprValuC+22], v[vgprValuC+23] // Pack with neighbor
_buffer_store_b64 v[20:21], v6, s[sgprSrdD:sgprSrdD+3], 0, offen, offset:256,  sc0 sc1 // store D
s_nop 0                                            // 1 wait state required when next inst writes vgprs held by previous dwordx4 store inst
s_branch label_GW_End_27                           // jump to end
label_GW_End_27:

s_endpgm                                           // Kernel End
OptNLL_End_17:


/******************************************/
/* Ord. NoLoadLoop - Begin                                      */
/******************************************/


	;; [unrolled: 1-line block ×3, first 2 shown]
/* Tail Loop in NoLoadLoop */
//numIterL = (((sizeL % LOCAL_DEPTHU) + LOCAL_SPLITU - 1) / LOCAL_SPLITU)
s_and_b32 s[sgprLoopCounterL], 63, s[sgprSizesSum+0] // s[sgprLoopCounterL] = s[sgprSizesSum+0] % 64
s_cmp_eq_u32 s[sgprLoopCounterL], 0x0              // numIterL == 0
s_cmov_b32 s[sgprLoopCounterL], 0x40               // Convert 0 to DepthU in tail loop NLL case


	;; [unrolled: 1-line block ×3, first 2 shown]
/* iter 0 (last unrolled loop) */

/*  grEndMfmaIndex:0, lwStartMfmaIndex:228, lwEndMfmaIndex:228  */
/*  numMfmaForLR:22, barrierMfmaIndex:233, LocalWritePerMfma:0.090 */
/*  mfmaIndex:0  */
s_waitcnt lgkmcnt(0)                               // lgkmcnt=0 vmcnt=-1wait for prior local read local write old=0, new=0 newLW=0 newLR=0
/* pack scheduling: packAIdx:2, packBIdx:2 */
v_perm_b32 v[vgprValuA_X0_I0+0], v[vgprValuA_X0_I0_D1+0], v[vgprValuA_X0_I0_D0+0], s[sgprPackKForV0] // select K=01 for vector=0
v_perm_b32 v[vgprValuA_X0_I0+1], v[vgprValuA_X0_I0_D3+0], v[vgprValuA_X0_I0_D2+0], s[sgprPackKForV0] // select K=23 for vector=0
v_perm_b32 v[vgprValuB_X0_I0+0], v[vgprValuB_X0_I0_D1+0], v[vgprValuB_X0_I0_D0+0], s[sgprPackKForV0] // select K=01 for vector=0
v_perm_b32 v[vgprValuB_X0_I0+1], v[vgprValuB_X0_I0_D3+0], v[vgprValuB_X0_I0_D2+0], s[sgprPackKForV0] // select K=23 for vector=0
v_perm_b32 v[vgprValuA_X0_I0+2], v[vgprValuA_X0_I0_D1+0], v[vgprValuA_X0_I0_D0+0], s[sgprPackKForV1] // select K=01 for vector=1
v_perm_b32 v[vgprValuA_X0_I0+3], v[vgprValuA_X0_I0_D3+0], v[vgprValuA_X0_I0_D2+0], s[sgprPackKForV1] // select K=23 for vector=1
s_nop 1
v_mfma_f32_16x16x16_f16 a[0+0:3+0], v[vgprValuB_X0_I0+0+0+0:vgprValuB_X0_I0+0+0+0+1], v[vgprValuA_X0_I0+0+0+0:vgprValuA_X0_I0+0+0+0+1], a[0:3]
/*  mfmaIndex:1  */
_ds_load_b64 v[vgprValuA_X1_I0_D0+0:vgprValuA_X1_I0_D0+0+1], v[vgprLocalReadAddrA] offset:8192 // L -> Reg lro=4096 swapByteOffset=0 ti=128 vIdx=0 rIdx=0 oIdx=0 buffer=1 iui=0
/* pack scheduling: packAIdx:4, packBIdx:2 */
v_perm_b32 v[vgprValuA_X0_I0+4], v[vgprValuA_X0_I0_D1+1], v[vgprValuA_X0_I0_D0+1], s[sgprPackKForV0] // select K=01 for vector=0
v_perm_b32 v[vgprValuA_X0_I0+5], v[vgprValuA_X0_I0_D3+1], v[vgprValuA_X0_I0_D2+1], s[sgprPackKForV0] // select K=23 for vector=0
v_mfma_f32_16x16x16_f16 a[4+0:7+0], v[vgprValuB_X0_I0+0+0+0:vgprValuB_X0_I0+0+0+0+1], v[vgprValuA_X0_I0+2+0+0:vgprValuA_X0_I0+2+0+0+1], a[4:7]
/*  mfmaIndex:2  */
_ds_load_b64 v[vgprValuA_X1_I0_D1+0:vgprValuA_X1_I0_D1+0+1], v[vgprLocalReadAddrA] offset:8704 // L -> Reg lro=4096 swapByteOffset=0 ti=128 vIdx=0 rIdx=1 oIdx=0 buffer=1 iui=0
/* pack scheduling: packAIdx:6, packBIdx:2 */
v_perm_b32 v[vgprValuA_X0_I0+6], v[vgprValuA_X0_I0_D1+1], v[vgprValuA_X0_I0_D0+1], s[sgprPackKForV1] // select K=01 for vector=1
v_perm_b32 v[vgprValuA_X0_I0+7], v[vgprValuA_X0_I0_D3+1], v[vgprValuA_X0_I0_D2+1], s[sgprPackKForV1] // select K=23 for vector=1
v_mfma_f32_16x16x16_f16 a[8+0:11+0], v[vgprValuB_X0_I0+0+0+0:vgprValuB_X0_I0+0+0+0+1], v[vgprValuA_X0_I0+4+0+0:vgprValuA_X0_I0+4+0+0+1], a[8:11]
/*  mfmaIndex:3  */
_ds_load_b64 v[vgprValuA_X1_I0_D2+0:vgprValuA_X1_I0_D2+0+1], v[vgprLocalReadAddrA] offset:9216 // L -> Reg lro=4096 swapByteOffset=0 ti=128 vIdx=0 rIdx=2 oIdx=0 buffer=1 iui=0
/* pack scheduling: packAIdx:8, packBIdx:2 */
v_perm_b32 v[vgprValuA_X0_I0+8], v[vgprValuA_X0_I0_D1+2], v[vgprValuA_X0_I0_D0+2], s[sgprPackKForV0] // select K=01 for vector=0
v_perm_b32 v[vgprValuA_X0_I0+9], v[vgprValuA_X0_I0_D3+2], v[vgprValuA_X0_I0_D2+2], s[sgprPackKForV0] // select K=23 for vector=0
v_mfma_f32_16x16x16_f16 a[12+0:15+0], v[vgprValuB_X0_I0+0+0+0:vgprValuB_X0_I0+0+0+0+1], v[vgprValuA_X0_I0+6+0+0:vgprValuA_X0_I0+6+0+0+1], a[12:15]
/*  mfmaIndex:4  */
_ds_load_b64 v[vgprValuA_X1_I0_D3+0:vgprValuA_X1_I0_D3+0+1], v[vgprLocalReadAddrA] offset:9728 // L -> Reg lro=4096 swapByteOffset=0 ti=128 vIdx=0 rIdx=3 oIdx=0 buffer=1 iui=0
/* pack scheduling: packAIdx:10, packBIdx:2 */
v_perm_b32 v[vgprValuA_X0_I0+10], v[vgprValuA_X0_I0_D1+2], v[vgprValuA_X0_I0_D0+2], s[sgprPackKForV1] // select K=01 for vector=1
v_perm_b32 v[vgprValuA_X0_I0+11], v[vgprValuA_X0_I0_D3+2], v[vgprValuA_X0_I0_D2+2], s[sgprPackKForV1] // select K=23 for vector=1
v_mfma_f32_16x16x16_f16 a[16+0:19+0], v[vgprValuB_X0_I0+0+0+0:vgprValuB_X0_I0+0+0+0+1], v[vgprValuA_X0_I0+8+0+0:vgprValuA_X0_I0+8+0+0+1], a[16:19]
/*  mfmaIndex:5  */
_ds_load_b64 v[vgprValuB_X1_I0_D0+0:vgprValuB_X1_I0_D0+0+1], v[vgprLocalReadAddrB] offset:8192 // L -> Reg lro=4096 swapByteOffset=0 ti=128 vIdx=0 rIdx=0 oIdx=0 buffer=1 iui=0
/* pack scheduling: packAIdx:12, packBIdx:2 */
v_perm_b32 v[vgprValuA_X0_I0+12], v[vgprValuA_X0_I0_D1+3], v[vgprValuA_X0_I0_D0+3], s[sgprPackKForV0] // select K=01 for vector=0
v_perm_b32 v[vgprValuA_X0_I0+13], v[vgprValuA_X0_I0_D3+3], v[vgprValuA_X0_I0_D2+3], s[sgprPackKForV0] // select K=23 for vector=0
v_mfma_f32_16x16x16_f16 a[20+0:23+0], v[vgprValuB_X0_I0+0+0+0:vgprValuB_X0_I0+0+0+0+1], v[vgprValuA_X0_I0+10+0+0:vgprValuA_X0_I0+10+0+0+1], a[20:23]
/*  mfmaIndex:6  */
_ds_load_b64 v[vgprValuB_X1_I0_D1+0:vgprValuB_X1_I0_D1+0+1], v[vgprLocalReadAddrB] offset:8704 // L -> Reg lro=4096 swapByteOffset=0 ti=128 vIdx=0 rIdx=1 oIdx=0 buffer=1 iui=0
/* pack scheduling: packAIdx:14, packBIdx:2 */
v_perm_b32 v[vgprValuA_X0_I0+14], v[vgprValuA_X0_I0_D1+3], v[vgprValuA_X0_I0_D0+3], s[sgprPackKForV1] // select K=01 for vector=1
v_perm_b32 v[vgprValuA_X0_I0+15], v[vgprValuA_X0_I0_D3+3], v[vgprValuA_X0_I0_D2+3], s[sgprPackKForV1] // select K=23 for vector=1
v_mfma_f32_16x16x16_f16 a[24+0:27+0], v[vgprValuB_X0_I0+0+0+0:vgprValuB_X0_I0+0+0+0+1], v[vgprValuA_X0_I0+12+0+0:vgprValuA_X0_I0+12+0+0+1], a[24:27]
/*  mfmaIndex:7  */
_ds_load_b64 v[vgprValuB_X1_I0_D2+0:vgprValuB_X1_I0_D2+0+1], v[vgprLocalReadAddrB] offset:9216 // L -> Reg lro=4096 swapByteOffset=0 ti=128 vIdx=0 rIdx=2 oIdx=0 buffer=1 iui=0
/* pack scheduling: packAIdx:16, packBIdx:2 */
v_perm_b32 v[vgprValuB_X0_I0+2], v[vgprValuB_X0_I0_D1+0], v[vgprValuB_X0_I0_D0+0], s[sgprPackKForV1] // select K=01 for vector=1
v_perm_b32 v[vgprValuB_X0_I0+3], v[vgprValuB_X0_I0_D3+0], v[vgprValuB_X0_I0_D2+0], s[sgprPackKForV1] // select K=23 for vector=1
v_mfma_f32_16x16x16_f16 a[28+0:31+0], v[vgprValuB_X0_I0+0+0+0:vgprValuB_X0_I0+0+0+0+1], v[vgprValuA_X0_I0+14+0+0:vgprValuA_X0_I0+14+0+0+1], a[28:31]
/*  mfmaIndex:8  */
_ds_load_b64 v[vgprValuB_X1_I0_D3+0:vgprValuB_X1_I0_D3+0+1], v[vgprLocalReadAddrB] offset:9728 // L -> Reg lro=4096 swapByteOffset=0 ti=128 vIdx=0 rIdx=3 oIdx=0 buffer=1 iui=0
/* pack scheduling: packAIdx:16, packBIdx:4 */
v_perm_b32 v[vgprValuB_X0_I0+4], v[vgprValuB_X0_I0_D1+1], v[vgprValuB_X0_I0_D0+1], s[sgprPackKForV0] // select K=01 for vector=0
v_perm_b32 v[vgprValuB_X0_I0+5], v[vgprValuB_X0_I0_D3+1], v[vgprValuB_X0_I0_D2+1], s[sgprPackKForV0] // select K=23 for vector=0
v_mfma_f32_16x16x16_f16 a[60+0:63+0], v[vgprValuB_X0_I0+2+0+0:vgprValuB_X0_I0+2+0+0+1], v[vgprValuA_X0_I0+14+0+0:vgprValuA_X0_I0+14+0+0+1], a[60:63]
/*  mfmaIndex:9  */
_ds_load_b64 v[vgprValuA_X1_I0_D0+2:vgprValuA_X1_I0_D0+2+1], v[vgprLocalReadAddrA] offset:8448 // L -> Reg lro=4096 swapByteOffset=0 ti=128 vIdx=1 rIdx=0 oIdx=0 buffer=1 iui=0
/* pack scheduling: packAIdx:16, packBIdx:4 */
v_perm_b32 v[vgprValuB_X0_I0+6], v[vgprValuB_X0_I0_D1+1], v[vgprValuB_X0_I0_D0+1], s[sgprPackKForV1] // select K=01 for vector=1
v_perm_b32 v[vgprValuB_X0_I0+7], v[vgprValuB_X0_I0_D3+1], v[vgprValuB_X0_I0_D2+1], s[sgprPackKForV1] // select K=23 for vector=1
v_mfma_f32_16x16x16_f16 a[56+0:59+0], v[vgprValuB_X0_I0+2+0+0:vgprValuB_X0_I0+2+0+0+1], v[vgprValuA_X0_I0+12+0+0:vgprValuA_X0_I0+12+0+0+1], a[56:59]
/*  mfmaIndex:10  */
_ds_load_b64 v[vgprValuA_X1_I0_D1+2:vgprValuA_X1_I0_D1+2+1], v[vgprLocalReadAddrA] offset:8960 // L -> Reg lro=4096 swapByteOffset=0 ti=128 vIdx=1 rIdx=1 oIdx=0 buffer=1 iui=0
/* pack scheduling: packAIdx:16, packBIdx:4 */
v_perm_b32 v[vgprValuB_X0_I0+8], v[vgprValuB_X0_I0_D1+2], v[vgprValuB_X0_I0_D0+2], s[sgprPackKForV0] // select K=01 for vector=0
v_perm_b32 v[vgprValuB_X0_I0+9], v[vgprValuB_X0_I0_D3+2], v[vgprValuB_X0_I0_D2+2], s[sgprPackKForV0] // select K=23 for vector=0
v_mfma_f32_16x16x16_f16 a[52+0:55+0], v[vgprValuB_X0_I0+2+0+0:vgprValuB_X0_I0+2+0+0+1], v[vgprValuA_X0_I0+10+0+0:vgprValuA_X0_I0+10+0+0+1], a[52:55]
/*  mfmaIndex:11  */
_ds_load_b64 v[vgprValuA_X1_I0_D2+2:vgprValuA_X1_I0_D2+2+1], v[vgprLocalReadAddrA] offset:9472 // L -> Reg lro=4096 swapByteOffset=0 ti=128 vIdx=1 rIdx=2 oIdx=0 buffer=1 iui=0
/* pack scheduling: packAIdx:16, packBIdx:4 */
v_perm_b32 v[vgprValuB_X0_I0+10], v[vgprValuB_X0_I0_D1+2], v[vgprValuB_X0_I0_D0+2], s[sgprPackKForV1] // select K=01 for vector=1
v_perm_b32 v[vgprValuB_X0_I0+11], v[vgprValuB_X0_I0_D3+2], v[vgprValuB_X0_I0_D2+2], s[sgprPackKForV1] // select K=23 for vector=1
v_mfma_f32_16x16x16_f16 a[48+0:51+0], v[vgprValuB_X0_I0+2+0+0:vgprValuB_X0_I0+2+0+0+1], v[vgprValuA_X0_I0+8+0+0:vgprValuA_X0_I0+8+0+0+1], a[48:51]
/*  mfmaIndex:12  */
_ds_load_b64 v[vgprValuA_X1_I0_D3+2:vgprValuA_X1_I0_D3+2+1], v[vgprLocalReadAddrA] offset:9984 // L -> Reg lro=4096 swapByteOffset=0 ti=128 vIdx=1 rIdx=3 oIdx=0 buffer=1 iui=0
/* pack scheduling: packAIdx:16, packBIdx:4 */
v_perm_b32 v[vgprValuB_X0_I0+12], v[vgprValuB_X0_I0_D1+3], v[vgprValuB_X0_I0_D0+3], s[sgprPackKForV0] // select K=01 for vector=0
v_perm_b32 v[vgprValuB_X0_I0+13], v[vgprValuB_X0_I0_D3+3], v[vgprValuB_X0_I0_D2+3], s[sgprPackKForV0] // select K=23 for vector=0
v_mfma_f32_16x16x16_f16 a[44+0:47+0], v[vgprValuB_X0_I0+2+0+0:vgprValuB_X0_I0+2+0+0+1], v[vgprValuA_X0_I0+6+0+0:vgprValuA_X0_I0+6+0+0+1], a[44:47]
/*  mfmaIndex:13  */
_ds_load_b64 v[vgprValuB_X1_I0_D0+2:vgprValuB_X1_I0_D0+2+1], v[vgprLocalReadAddrB] offset:8448 // L -> Reg lro=4096 swapByteOffset=0 ti=128 vIdx=1 rIdx=0 oIdx=0 buffer=1 iui=0
/* pack scheduling: packAIdx:16, packBIdx:4 */
v_perm_b32 v[vgprValuB_X0_I0+14], v[vgprValuB_X0_I0_D1+3], v[vgprValuB_X0_I0_D0+3], s[sgprPackKForV1] // select K=01 for vector=1
v_perm_b32 v[vgprValuB_X0_I0+15], v[vgprValuB_X0_I0_D3+3], v[vgprValuB_X0_I0_D2+3], s[sgprPackKForV1] // select K=23 for vector=1
v_mfma_f32_16x16x16_f16 a[40+0:43+0], v[vgprValuB_X0_I0+2+0+0:vgprValuB_X0_I0+2+0+0+1], v[vgprValuA_X0_I0+4+0+0:vgprValuA_X0_I0+4+0+0+1], a[40:43]
/*  mfmaIndex:14  */
_ds_load_b64 v[vgprValuB_X1_I0_D1+2:vgprValuB_X1_I0_D1+2+1], v[vgprLocalReadAddrB] offset:8960 // L -> Reg lro=4096 swapByteOffset=0 ti=128 vIdx=1 rIdx=1 oIdx=0 buffer=1 iui=0
v_mfma_f32_16x16x16_f16 a[36+0:39+0], v[vgprValuB_X0_I0+2+0+0:vgprValuB_X0_I0+2+0+0+1], v[vgprValuA_X0_I0+2+0+0:vgprValuA_X0_I0+2+0+0+1], a[36:39]
/*  mfmaIndex:15  */
_ds_load_b64 v[vgprValuB_X1_I0_D2+2:vgprValuB_X1_I0_D2+2+1], v[vgprLocalReadAddrB] offset:9472 // L -> Reg lro=4096 swapByteOffset=0 ti=128 vIdx=1 rIdx=2 oIdx=0 buffer=1 iui=0
v_mfma_f32_16x16x16_f16 a[32+0:35+0], v[vgprValuB_X0_I0+2+0+0:vgprValuB_X0_I0+2+0+0+1], v[vgprValuA_X0_I0+0+0+0:vgprValuA_X0_I0+0+0+0+1], a[32:35]
/*  mfmaIndex:16  */
_ds_load_b64 v[vgprValuB_X1_I0_D3+2:vgprValuB_X1_I0_D3+2+1], v[vgprLocalReadAddrB] offset:9984 // L -> Reg lro=4096 swapByteOffset=0 ti=128 vIdx=1 rIdx=3 oIdx=0 buffer=1 iui=0
v_mfma_f32_16x16x16_f16 a[64+0:67+0], v[vgprValuB_X0_I0+4+0+0:vgprValuB_X0_I0+4+0+0+1], v[vgprValuA_X0_I0+0+0+0:vgprValuA_X0_I0+0+0+0+1], a[64:67]
/*  mfmaIndex:17  */
/* localReadsVacancy: latencyLeft 2 */
_ds_load_b64 v[vgprValuA_X2_I0_D0+0:vgprValuA_X2_I0_D0+0+1], v[vgprLocalReadAddrA] offset:16384 // L -> Reg lro=8192 swapByteOffset=0 ti=128 vIdx=0 rIdx=0 oIdx=0 buffer=2 iui=0
v_mfma_f32_16x16x16_f16 a[68+0:71+0], v[vgprValuB_X0_I0+4+0+0:vgprValuB_X0_I0+4+0+0+1], v[vgprValuA_X0_I0+2+0+0:vgprValuA_X0_I0+2+0+0+1], a[68:71]
/*  mfmaIndex:18  */
/* localReadsVacancy: latencyLeft 2 */
_ds_load_b64 v[vgprValuA_X2_I0_D1+0:vgprValuA_X2_I0_D1+0+1], v[vgprLocalReadAddrA] offset:16896 // L -> Reg lro=8192 swapByteOffset=0 ti=128 vIdx=0 rIdx=1 oIdx=0 buffer=2 iui=0
v_mfma_f32_16x16x16_f16 a[72+0:75+0], v[vgprValuB_X0_I0+4+0+0:vgprValuB_X0_I0+4+0+0+1], v[vgprValuA_X0_I0+4+0+0:vgprValuA_X0_I0+4+0+0+1], a[72:75]
/*  mfmaIndex:19  */
/* localReadsVacancy: latencyLeft 2 */
_ds_load_b64 v[vgprValuA_X2_I0_D2+0:vgprValuA_X2_I0_D2+0+1], v[vgprLocalReadAddrA] offset:17408 // L -> Reg lro=8192 swapByteOffset=0 ti=128 vIdx=0 rIdx=2 oIdx=0 buffer=2 iui=0
v_mfma_f32_16x16x16_f16 a[76+0:79+0], v[vgprValuB_X0_I0+4+0+0:vgprValuB_X0_I0+4+0+0+1], v[vgprValuA_X0_I0+6+0+0:vgprValuA_X0_I0+6+0+0+1], a[76:79]
/*  mfmaIndex:20  */
/* localReadsVacancy: latencyLeft 2 */
_ds_load_b64 v[vgprValuA_X2_I0_D3+0:vgprValuA_X2_I0_D3+0+1], v[vgprLocalReadAddrA] offset:17920 // L -> Reg lro=8192 swapByteOffset=0 ti=128 vIdx=0 rIdx=3 oIdx=0 buffer=2 iui=0
v_mfma_f32_16x16x16_f16 a[80+0:83+0], v[vgprValuB_X0_I0+4+0+0:vgprValuB_X0_I0+4+0+0+1], v[vgprValuA_X0_I0+8+0+0:vgprValuA_X0_I0+8+0+0+1], a[80:83]
/*  mfmaIndex:21  */
/* localReadsVacancy: latencyLeft 2 */
_ds_load_b64 v[vgprValuB_X2_I0_D0+0:vgprValuB_X2_I0_D0+0+1], v[vgprLocalReadAddrB] offset:16384 // L -> Reg lro=8192 swapByteOffset=0 ti=128 vIdx=0 rIdx=0 oIdx=0 buffer=2 iui=0
v_mfma_f32_16x16x16_f16 a[84+0:87+0], v[vgprValuB_X0_I0+4+0+0:vgprValuB_X0_I0+4+0+0+1], v[vgprValuA_X0_I0+10+0+0:vgprValuA_X0_I0+10+0+0+1], a[84:87]
/*  mfmaIndex:22  */
/* localReadsVacancy: latencyLeft 2 */
_ds_load_b64 v[vgprValuB_X2_I0_D1+0:vgprValuB_X2_I0_D1+0+1], v[vgprLocalReadAddrB] offset:16896 // L -> Reg lro=8192 swapByteOffset=0 ti=128 vIdx=0 rIdx=1 oIdx=0 buffer=2 iui=0
v_mfma_f32_16x16x16_f16 a[88+0:91+0], v[vgprValuB_X0_I0+4+0+0:vgprValuB_X0_I0+4+0+0+1], v[vgprValuA_X0_I0+12+0+0:vgprValuA_X0_I0+12+0+0+1], a[88:91]
/*  mfmaIndex:23  */
/* localReadsVacancy: latencyLeft 2 */
_ds_load_b64 v[vgprValuB_X2_I0_D2+0:vgprValuB_X2_I0_D2+0+1], v[vgprLocalReadAddrB] offset:17408 // L -> Reg lro=8192 swapByteOffset=0 ti=128 vIdx=0 rIdx=2 oIdx=0 buffer=2 iui=0
v_mfma_f32_16x16x16_f16 a[92+0:95+0], v[vgprValuB_X0_I0+4+0+0:vgprValuB_X0_I0+4+0+0+1], v[vgprValuA_X0_I0+14+0+0:vgprValuA_X0_I0+14+0+0+1], a[92:95]
/*  mfmaIndex:24  */
/* localReadsVacancy: latencyLeft 2 */
_ds_load_b64 v[vgprValuB_X2_I0_D3+0:vgprValuB_X2_I0_D3+0+1], v[vgprLocalReadAddrB] offset:17920 // L -> Reg lro=8192 swapByteOffset=0 ti=128 vIdx=0 rIdx=3 oIdx=0 buffer=2 iui=0
v_mfma_f32_16x16x16_f16 a[124+0:127+0], v[vgprValuB_X0_I0+6+0+0:vgprValuB_X0_I0+6+0+0+1], v[vgprValuA_X0_I0+14+0+0:vgprValuA_X0_I0+14+0+0+1], a[124:127]
/*  mfmaIndex:25  */
/* localReadsVacancy: latencyLeft 2 */
_ds_load_b64 v[vgprValuA_X2_I0_D0+2:vgprValuA_X2_I0_D0+2+1], v[vgprLocalReadAddrA] offset:16640 // L -> Reg lro=8192 swapByteOffset=0 ti=128 vIdx=1 rIdx=0 oIdx=0 buffer=2 iui=0
v_mfma_f32_16x16x16_f16 a[120+0:123+0], v[vgprValuB_X0_I0+6+0+0:vgprValuB_X0_I0+6+0+0+1], v[vgprValuA_X0_I0+12+0+0:vgprValuA_X0_I0+12+0+0+1], a[120:123]
/*  mfmaIndex:26  */
/* localReadsVacancy: latencyLeft 2 */
_ds_load_b64 v[vgprValuA_X2_I0_D1+2:vgprValuA_X2_I0_D1+2+1], v[vgprLocalReadAddrA] offset:17152 // L -> Reg lro=8192 swapByteOffset=0 ti=128 vIdx=1 rIdx=1 oIdx=0 buffer=2 iui=0
v_mfma_f32_16x16x16_f16 a[116+0:119+0], v[vgprValuB_X0_I0+6+0+0:vgprValuB_X0_I0+6+0+0+1], v[vgprValuA_X0_I0+10+0+0:vgprValuA_X0_I0+10+0+0+1], a[116:119]
/*  mfmaIndex:27  */
/* localReadsVacancy: latencyLeft 2 */
_ds_load_b64 v[vgprValuA_X2_I0_D2+2:vgprValuA_X2_I0_D2+2+1], v[vgprLocalReadAddrA] offset:17664 // L -> Reg lro=8192 swapByteOffset=0 ti=128 vIdx=1 rIdx=2 oIdx=0 buffer=2 iui=0
v_mfma_f32_16x16x16_f16 a[112+0:115+0], v[vgprValuB_X0_I0+6+0+0:vgprValuB_X0_I0+6+0+0+1], v[vgprValuA_X0_I0+8+0+0:vgprValuA_X0_I0+8+0+0+1], a[112:115]
/*  mfmaIndex:28  */
/* localReadsVacancy: latencyLeft 2 */
_ds_load_b64 v[vgprValuA_X2_I0_D3+2:vgprValuA_X2_I0_D3+2+1], v[vgprLocalReadAddrA] offset:18176 // L -> Reg lro=8192 swapByteOffset=0 ti=128 vIdx=1 rIdx=3 oIdx=0 buffer=2 iui=0
v_mfma_f32_16x16x16_f16 a[108+0:111+0], v[vgprValuB_X0_I0+6+0+0:vgprValuB_X0_I0+6+0+0+1], v[vgprValuA_X0_I0+6+0+0:vgprValuA_X0_I0+6+0+0+1], a[108:111]
/*  mfmaIndex:29  */
/* localReadsVacancy: latencyLeft 2 */
_ds_load_b64 v[vgprValuB_X2_I0_D0+2:vgprValuB_X2_I0_D0+2+1], v[vgprLocalReadAddrB] offset:16640 // L -> Reg lro=8192 swapByteOffset=0 ti=128 vIdx=1 rIdx=0 oIdx=0 buffer=2 iui=0
v_mfma_f32_16x16x16_f16 a[104+0:107+0], v[vgprValuB_X0_I0+6+0+0:vgprValuB_X0_I0+6+0+0+1], v[vgprValuA_X0_I0+4+0+0:vgprValuA_X0_I0+4+0+0+1], a[104:107]
/*  mfmaIndex:30  */
/* localReadsVacancy: latencyLeft 2 */
_ds_load_b64 v[vgprValuB_X2_I0_D1+2:vgprValuB_X2_I0_D1+2+1], v[vgprLocalReadAddrB] offset:17152 // L -> Reg lro=8192 swapByteOffset=0 ti=128 vIdx=1 rIdx=1 oIdx=0 buffer=2 iui=0
v_mfma_f32_16x16x16_f16 a[100+0:103+0], v[vgprValuB_X0_I0+6+0+0:vgprValuB_X0_I0+6+0+0+1], v[vgprValuA_X0_I0+2+0+0:vgprValuA_X0_I0+2+0+0+1], a[100:103]
/*  mfmaIndex:31  */
/* localReadsVacancy: latencyLeft 2 */
_ds_load_b64 v[vgprValuB_X2_I0_D2+2:vgprValuB_X2_I0_D2+2+1], v[vgprLocalReadAddrB] offset:17664 // L -> Reg lro=8192 swapByteOffset=0 ti=128 vIdx=1 rIdx=2 oIdx=0 buffer=2 iui=0
v_mfma_f32_16x16x16_f16 a[96+0:99+0], v[vgprValuB_X0_I0+6+0+0:vgprValuB_X0_I0+6+0+0+1], v[vgprValuA_X0_I0+0+0+0:vgprValuA_X0_I0+0+0+0+1], a[96:99]
/*  mfmaIndex:32  */
/* localReadsVacancy: latencyLeft 2 */
_ds_load_b64 v[vgprValuB_X2_I0_D3+2:vgprValuB_X2_I0_D3+2+1], v[vgprLocalReadAddrB] offset:18176 // L -> Reg lro=8192 swapByteOffset=0 ti=128 vIdx=1 rIdx=3 oIdx=0 buffer=2 iui=0
v_mfma_f32_16x16x16_f16 a[128+0:131+0], v[vgprValuB_X0_I0+8+0+0:vgprValuB_X0_I0+8+0+0+1], v[vgprValuA_X0_I0+0+0+0:vgprValuA_X0_I0+0+0+0+1], a[128:131]
/*  mfmaIndex:33  */
/* localReadsVacancy: latencyLeft 2 */
_ds_load_b64 v[vgprValuA_X3_I0_D0+0:vgprValuA_X3_I0_D0+0+1], v[vgprLocalReadAddrA] offset:24576 // L -> Reg lro=12288 swapByteOffset=0 ti=128 vIdx=0 rIdx=0 oIdx=0 buffer=3 iui=0
v_mfma_f32_16x16x16_f16 a[132+0:135+0], v[vgprValuB_X0_I0+8+0+0:vgprValuB_X0_I0+8+0+0+1], v[vgprValuA_X0_I0+2+0+0:vgprValuA_X0_I0+2+0+0+1], a[132:135]
/*  mfmaIndex:34  */
/* localReadsVacancy: latencyLeft 2 */
_ds_load_b64 v[vgprValuA_X3_I0_D1+0:vgprValuA_X3_I0_D1+0+1], v[vgprLocalReadAddrA] offset:25088 // L -> Reg lro=12288 swapByteOffset=0 ti=128 vIdx=0 rIdx=1 oIdx=0 buffer=3 iui=0
v_mfma_f32_16x16x16_f16 a[136+0:139+0], v[vgprValuB_X0_I0+8+0+0:vgprValuB_X0_I0+8+0+0+1], v[vgprValuA_X0_I0+4+0+0:vgprValuA_X0_I0+4+0+0+1], a[136:139]
/*  mfmaIndex:35  */
/* localReadsVacancy: latencyLeft 2 */
_ds_load_b64 v[vgprValuA_X3_I0_D2+0:vgprValuA_X3_I0_D2+0+1], v[vgprLocalReadAddrA] offset:25600 // L -> Reg lro=12288 swapByteOffset=0 ti=128 vIdx=0 rIdx=2 oIdx=0 buffer=3 iui=0
v_mfma_f32_16x16x16_f16 a[140+0:143+0], v[vgprValuB_X0_I0+8+0+0:vgprValuB_X0_I0+8+0+0+1], v[vgprValuA_X0_I0+6+0+0:vgprValuA_X0_I0+6+0+0+1], a[140:143]
/*  mfmaIndex:36  */
/* localReadsVacancy: latencyLeft 2 */
_ds_load_b64 v[vgprValuA_X3_I0_D3+0:vgprValuA_X3_I0_D3+0+1], v[vgprLocalReadAddrA] offset:26112 // L -> Reg lro=12288 swapByteOffset=0 ti=128 vIdx=0 rIdx=3 oIdx=0 buffer=3 iui=0
v_mfma_f32_16x16x16_f16 a[144+0:147+0], v[vgprValuB_X0_I0+8+0+0:vgprValuB_X0_I0+8+0+0+1], v[vgprValuA_X0_I0+8+0+0:vgprValuA_X0_I0+8+0+0+1], a[144:147]
/*  mfmaIndex:37  */
/* localReadsVacancy: latencyLeft 2 */
_ds_load_b64 v[vgprValuB_X3_I0_D0+0:vgprValuB_X3_I0_D0+0+1], v[vgprLocalReadAddrB] offset:24576 // L -> Reg lro=12288 swapByteOffset=0 ti=128 vIdx=0 rIdx=0 oIdx=0 buffer=3 iui=0
v_mfma_f32_16x16x16_f16 a[148+0:151+0], v[vgprValuB_X0_I0+8+0+0:vgprValuB_X0_I0+8+0+0+1], v[vgprValuA_X0_I0+10+0+0:vgprValuA_X0_I0+10+0+0+1], a[148:151]
/*  mfmaIndex:38  */
/* localReadsVacancy: latencyLeft 2 */
_ds_load_b64 v[vgprValuB_X3_I0_D1+0:vgprValuB_X3_I0_D1+0+1], v[vgprLocalReadAddrB] offset:25088 // L -> Reg lro=12288 swapByteOffset=0 ti=128 vIdx=0 rIdx=1 oIdx=0 buffer=3 iui=0
v_mfma_f32_16x16x16_f16 a[152+0:155+0], v[vgprValuB_X0_I0+8+0+0:vgprValuB_X0_I0+8+0+0+1], v[vgprValuA_X0_I0+12+0+0:vgprValuA_X0_I0+12+0+0+1], a[152:155]
/*  mfmaIndex:39  */
/* localReadsVacancy: latencyLeft 2 */
_ds_load_b64 v[vgprValuB_X3_I0_D2+0:vgprValuB_X3_I0_D2+0+1], v[vgprLocalReadAddrB] offset:25600 // L -> Reg lro=12288 swapByteOffset=0 ti=128 vIdx=0 rIdx=2 oIdx=0 buffer=3 iui=0
v_mfma_f32_16x16x16_f16 a[156+0:159+0], v[vgprValuB_X0_I0+8+0+0:vgprValuB_X0_I0+8+0+0+1], v[vgprValuA_X0_I0+14+0+0:vgprValuA_X0_I0+14+0+0+1], a[156:159]
/*  mfmaIndex:40  */
/* localReadsVacancy: latencyLeft 2 */
_ds_load_b64 v[vgprValuB_X3_I0_D3+0:vgprValuB_X3_I0_D3+0+1], v[vgprLocalReadAddrB] offset:26112 // L -> Reg lro=12288 swapByteOffset=0 ti=128 vIdx=0 rIdx=3 oIdx=0 buffer=3 iui=0
v_mfma_f32_16x16x16_f16 a[188+0:191+0], v[vgprValuB_X0_I0+10+0+0:vgprValuB_X0_I0+10+0+0+1], v[vgprValuA_X0_I0+14+0+0:vgprValuA_X0_I0+14+0+0+1], a[188:191]
/*  mfmaIndex:41  */
/* localReadsVacancy: latencyLeft 2 */
_ds_load_b64 v[vgprValuA_X3_I0_D0+2:vgprValuA_X3_I0_D0+2+1], v[vgprLocalReadAddrA] offset:24832 // L -> Reg lro=12288 swapByteOffset=0 ti=128 vIdx=1 rIdx=0 oIdx=0 buffer=3 iui=0
v_mfma_f32_16x16x16_f16 a[184+0:187+0], v[vgprValuB_X0_I0+10+0+0:vgprValuB_X0_I0+10+0+0+1], v[vgprValuA_X0_I0+12+0+0:vgprValuA_X0_I0+12+0+0+1], a[184:187]
/*  mfmaIndex:42  */
/* localReadsVacancy: latencyLeft 2 */
_ds_load_b64 v[vgprValuA_X3_I0_D1+2:vgprValuA_X3_I0_D1+2+1], v[vgprLocalReadAddrA] offset:25344 // L -> Reg lro=12288 swapByteOffset=0 ti=128 vIdx=1 rIdx=1 oIdx=0 buffer=3 iui=0
v_mfma_f32_16x16x16_f16 a[180+0:183+0], v[vgprValuB_X0_I0+10+0+0:vgprValuB_X0_I0+10+0+0+1], v[vgprValuA_X0_I0+10+0+0:vgprValuA_X0_I0+10+0+0+1], a[180:183]
/*  mfmaIndex:43  */
/* localReadsVacancy: latencyLeft 2 */
_ds_load_b64 v[vgprValuA_X3_I0_D2+2:vgprValuA_X3_I0_D2+2+1], v[vgprLocalReadAddrA] offset:25856 // L -> Reg lro=12288 swapByteOffset=0 ti=128 vIdx=1 rIdx=2 oIdx=0 buffer=3 iui=0
v_mfma_f32_16x16x16_f16 a[176+0:179+0], v[vgprValuB_X0_I0+10+0+0:vgprValuB_X0_I0+10+0+0+1], v[vgprValuA_X0_I0+8+0+0:vgprValuA_X0_I0+8+0+0+1], a[176:179]
/*  mfmaIndex:44  */
/* localReadsVacancy: latencyLeft 2 */
_ds_load_b64 v[vgprValuA_X3_I0_D3+2:vgprValuA_X3_I0_D3+2+1], v[vgprLocalReadAddrA] offset:26368 // L -> Reg lro=12288 swapByteOffset=0 ti=128 vIdx=1 rIdx=3 oIdx=0 buffer=3 iui=0
v_mfma_f32_16x16x16_f16 a[172+0:175+0], v[vgprValuB_X0_I0+10+0+0:vgprValuB_X0_I0+10+0+0+1], v[vgprValuA_X0_I0+6+0+0:vgprValuA_X0_I0+6+0+0+1], a[172:175]
/*  mfmaIndex:45  */
/* localReadsVacancy: latencyLeft 2 */
_ds_load_b64 v[vgprValuB_X3_I0_D0+2:vgprValuB_X3_I0_D0+2+1], v[vgprLocalReadAddrB] offset:24832 // L -> Reg lro=12288 swapByteOffset=0 ti=128 vIdx=1 rIdx=0 oIdx=0 buffer=3 iui=0
v_mfma_f32_16x16x16_f16 a[168+0:171+0], v[vgprValuB_X0_I0+10+0+0:vgprValuB_X0_I0+10+0+0+1], v[vgprValuA_X0_I0+4+0+0:vgprValuA_X0_I0+4+0+0+1], a[168:171]
/*  mfmaIndex:46  */
/* localReadsVacancy: latencyLeft 2 */
_ds_load_b64 v[vgprValuB_X3_I0_D1+2:vgprValuB_X3_I0_D1+2+1], v[vgprLocalReadAddrB] offset:25344 // L -> Reg lro=12288 swapByteOffset=0 ti=128 vIdx=1 rIdx=1 oIdx=0 buffer=3 iui=0
v_mfma_f32_16x16x16_f16 a[164+0:167+0], v[vgprValuB_X0_I0+10+0+0:vgprValuB_X0_I0+10+0+0+1], v[vgprValuA_X0_I0+2+0+0:vgprValuA_X0_I0+2+0+0+1], a[164:167]
/*  mfmaIndex:47  */
/* localReadsVacancy: latencyLeft 2 */
_ds_load_b64 v[vgprValuB_X3_I0_D2+2:vgprValuB_X3_I0_D2+2+1], v[vgprLocalReadAddrB] offset:25856 // L -> Reg lro=12288 swapByteOffset=0 ti=128 vIdx=1 rIdx=2 oIdx=0 buffer=3 iui=0
v_mfma_f32_16x16x16_f16 a[160+0:163+0], v[vgprValuB_X0_I0+10+0+0:vgprValuB_X0_I0+10+0+0+1], v[vgprValuA_X0_I0+0+0+0:vgprValuA_X0_I0+0+0+0+1], a[160:163]
/*  mfmaIndex:48  */
/* localReadsVacancy: latencyLeft 2 */
_ds_load_b64 v[vgprValuB_X3_I0_D3+2:vgprValuB_X3_I0_D3+2+1], v[vgprLocalReadAddrB] offset:26368 // L -> Reg lro=12288 swapByteOffset=0 ti=128 vIdx=1 rIdx=3 oIdx=0 buffer=3 iui=0
v_mfma_f32_16x16x16_f16 a[192+0:195+0], v[vgprValuB_X0_I0+12+0+0:vgprValuB_X0_I0+12+0+0+1], v[vgprValuA_X0_I0+0+0+0:vgprValuA_X0_I0+0+0+0+1], a[192:195]
/*  mfmaIndex:49  */
/* localReadsVacancy: latencyLeft 2 */
v_mfma_f32_16x16x16_f16 a[196+0:199+0], v[vgprValuB_X0_I0+12+0+0:vgprValuB_X0_I0+12+0+0+1], v[vgprValuA_X0_I0+2+0+0:vgprValuA_X0_I0+2+0+0+1], a[196:199]
/*  mfmaIndex:50  */
/* localReadsVacancy: latencyLeft 2 */
	;; [unrolled: 3-line block ×15, first 2 shown]
v_mfma_f32_16x16x16_f16 a[224+0:227+0], v[vgprValuB_X0_I0+14+0+0:vgprValuB_X0_I0+14+0+0+1], v[vgprValuA_X0_I0+0+0+0:vgprValuA_X0_I0+0+0+0+1], a[224:227]
/* numPrefetchIter=0 */
/* dataAtIterA=-1 numReadsIterA=1 skipReadsIterA=1 readsPerIterA=8 */
/* dataAtIterB=-1 numReadsIterB=1 skipReadsIterB=1 readsPerIterB=8 */


/* closeLoop loopL finalLoop=0 tailLoop=1 */
s_sub_i32 s[sgprLoopCounterL], s[sgprLoopCounterL], 0x10 // dec counterL (tailLoop)
s_add_u32 s[sgprOrigLoopCounter], s[sgprOrigLoopCounter], 0x10 // inc counterL
s_cmp_le_i32 s[sgprLoopCounterL], 0x0              // counterL<=0
s_cbranch_scc1 TailLoopEndL_7                      // exit LoopL


/* iter 1 (last unrolled loop) */

/*  grEndMfmaIndex:0, lwStartMfmaIndex:228, lwEndMfmaIndex:228  */
/*  numMfmaForLR:22, barrierMfmaIndex:233, LocalWritePerMfma:0.090 */
/*  mfmaIndex:64  */
/* localReadsVacancy: latencyLeft 2 */
s_waitcnt lgkmcnt(15)                              // lgkmcnt=0 vmcnt=-1wait for prior local read local write old=16, new=16 newLW=0 newLR=0
/* pack scheduling: packAIdx:2, packBIdx:2 */
v_perm_b32 v[vgprValuA_X1_I0+0], v[vgprValuA_X1_I0_D1+0], v[vgprValuA_X1_I0_D0+0], s[sgprPackKForV0] // select K=01 for vector=0
v_perm_b32 v[vgprValuA_X1_I0+1], v[vgprValuA_X1_I0_D3+0], v[vgprValuA_X1_I0_D2+0], s[sgprPackKForV0] // select K=23 for vector=0
v_perm_b32 v[vgprValuB_X1_I0+0], v[vgprValuB_X1_I0_D1+0], v[vgprValuB_X1_I0_D0+0], s[sgprPackKForV0] // select K=01 for vector=0
v_perm_b32 v[vgprValuB_X1_I0+1], v[vgprValuB_X1_I0_D3+0], v[vgprValuB_X1_I0_D2+0], s[sgprPackKForV0] // select K=23 for vector=0
v_perm_b32 v[vgprValuA_X1_I0+2], v[vgprValuA_X1_I0_D1+0], v[vgprValuA_X1_I0_D0+0], s[sgprPackKForV1] // select K=01 for vector=1
v_perm_b32 v[vgprValuA_X1_I0+3], v[vgprValuA_X1_I0_D3+0], v[vgprValuA_X1_I0_D2+0], s[sgprPackKForV1] // select K=23 for vector=1
s_nop 1
v_mfma_f32_16x16x16_f16 a[0+0:3+0], v[vgprValuB_X1_I0+0+0+0:vgprValuB_X1_I0+0+0+0+1], v[vgprValuA_X1_I0+0+0+0:vgprValuA_X1_I0+0+0+0+1], a[0:3]
/*  mfmaIndex:65  */
/* localReadsVacancy: latencyLeft 2 */
/* pack scheduling: packAIdx:4, packBIdx:2 */
v_perm_b32 v[vgprValuA_X1_I0+4], v[vgprValuA_X1_I0_D1+1], v[vgprValuA_X1_I0_D0+1], s[sgprPackKForV0] // select K=01 for vector=0
v_perm_b32 v[vgprValuA_X1_I0+5], v[vgprValuA_X1_I0_D3+1], v[vgprValuA_X1_I0_D2+1], s[sgprPackKForV0] // select K=23 for vector=0
v_mfma_f32_16x16x16_f16 a[4+0:7+0], v[vgprValuB_X1_I0+0+0+0:vgprValuB_X1_I0+0+0+0+1], v[vgprValuA_X1_I0+2+0+0:vgprValuA_X1_I0+2+0+0+1], a[4:7]
/*  mfmaIndex:66  */
/* localReadsVacancy: latencyLeft 2 */
/* pack scheduling: packAIdx:6, packBIdx:2 */
v_perm_b32 v[vgprValuA_X1_I0+6], v[vgprValuA_X1_I0_D1+1], v[vgprValuA_X1_I0_D0+1], s[sgprPackKForV1] // select K=01 for vector=1
v_perm_b32 v[vgprValuA_X1_I0+7], v[vgprValuA_X1_I0_D3+1], v[vgprValuA_X1_I0_D2+1], s[sgprPackKForV1] // select K=23 for vector=1
v_mfma_f32_16x16x16_f16 a[8+0:11+0], v[vgprValuB_X1_I0+0+0+0:vgprValuB_X1_I0+0+0+0+1], v[vgprValuA_X1_I0+4+0+0:vgprValuA_X1_I0+4+0+0+1], a[8:11]
/*  mfmaIndex:67  */
/* localReadsVacancy: latencyLeft 2 */
/* pack scheduling: packAIdx:8, packBIdx:2 */
v_perm_b32 v[vgprValuA_X1_I0+8], v[vgprValuA_X1_I0_D1+2], v[vgprValuA_X1_I0_D0+2], s[sgprPackKForV0] // select K=01 for vector=0
v_perm_b32 v[vgprValuA_X1_I0+9], v[vgprValuA_X1_I0_D3+2], v[vgprValuA_X1_I0_D2+2], s[sgprPackKForV0] // select K=23 for vector=0
v_mfma_f32_16x16x16_f16 a[12+0:15+0], v[vgprValuB_X1_I0+0+0+0:vgprValuB_X1_I0+0+0+0+1], v[vgprValuA_X1_I0+6+0+0:vgprValuA_X1_I0+6+0+0+1], a[12:15]
/*  mfmaIndex:68  */
/* localReadsVacancy: latencyLeft 2 */
/* pack scheduling: packAIdx:10, packBIdx:2 */
v_perm_b32 v[vgprValuA_X1_I0+10], v[vgprValuA_X1_I0_D1+2], v[vgprValuA_X1_I0_D0+2], s[sgprPackKForV1] // select K=01 for vector=1
v_perm_b32 v[vgprValuA_X1_I0+11], v[vgprValuA_X1_I0_D3+2], v[vgprValuA_X1_I0_D2+2], s[sgprPackKForV1] // select K=23 for vector=1
	;; [unrolled: 12-line block ×3, first 2 shown]
v_mfma_f32_16x16x16_f16 a[24+0:27+0], v[vgprValuB_X1_I0+0+0+0:vgprValuB_X1_I0+0+0+0+1], v[vgprValuA_X1_I0+12+0+0:vgprValuA_X1_I0+12+0+0+1], a[24:27]
/*  mfmaIndex:71  */
/* localReadsVacancy: latencyLeft 2 */
/* pack scheduling: packAIdx:16, packBIdx:2 */
v_perm_b32 v[vgprValuB_X1_I0+2], v[vgprValuB_X1_I0_D1+0], v[vgprValuB_X1_I0_D0+0], s[sgprPackKForV1] // select K=01 for vector=1
v_perm_b32 v[vgprValuB_X1_I0+3], v[vgprValuB_X1_I0_D3+0], v[vgprValuB_X1_I0_D2+0], s[sgprPackKForV1] // select K=23 for vector=1
v_mfma_f32_16x16x16_f16 a[28+0:31+0], v[vgprValuB_X1_I0+0+0+0:vgprValuB_X1_I0+0+0+0+1], v[vgprValuA_X1_I0+14+0+0:vgprValuA_X1_I0+14+0+0+1], a[28:31]
/*  mfmaIndex:72  */
/* localReadsVacancy: latencyLeft 2 */
/* pack scheduling: packAIdx:16, packBIdx:4 */
v_perm_b32 v[vgprValuB_X1_I0+4], v[vgprValuB_X1_I0_D1+1], v[vgprValuB_X1_I0_D0+1], s[sgprPackKForV0] // select K=01 for vector=0
v_perm_b32 v[vgprValuB_X1_I0+5], v[vgprValuB_X1_I0_D3+1], v[vgprValuB_X1_I0_D2+1], s[sgprPackKForV0] // select K=23 for vector=0
v_mfma_f32_16x16x16_f16 a[60+0:63+0], v[vgprValuB_X1_I0+2+0+0:vgprValuB_X1_I0+2+0+0+1], v[vgprValuA_X1_I0+14+0+0:vgprValuA_X1_I0+14+0+0+1], a[60:63]
/*  mfmaIndex:73  */
/* localReadsVacancy: latencyLeft 2 */
/* pack scheduling: packAIdx:16, packBIdx:4 */
v_perm_b32 v[vgprValuB_X1_I0+6], v[vgprValuB_X1_I0_D1+1], v[vgprValuB_X1_I0_D0+1], s[sgprPackKForV1] // select K=01 for vector=1
v_perm_b32 v[vgprValuB_X1_I0+7], v[vgprValuB_X1_I0_D3+1], v[vgprValuB_X1_I0_D2+1], s[sgprPackKForV1] // select K=23 for vector=1
v_mfma_f32_16x16x16_f16 a[56+0:59+0], v[vgprValuB_X1_I0+2+0+0:vgprValuB_X1_I0+2+0+0+1], v[vgprValuA_X1_I0+12+0+0:vgprValuA_X1_I0+12+0+0+1], a[56:59]
/*  mfmaIndex:74  */
/* localReadsVacancy: latencyLeft 2 */
/* pack scheduling: packAIdx:16, packBIdx:4 */
v_perm_b32 v[vgprValuB_X1_I0+8], v[vgprValuB_X1_I0_D1+2], v[vgprValuB_X1_I0_D0+2], s[sgprPackKForV0] // select K=01 for vector=0
v_perm_b32 v[vgprValuB_X1_I0+9], v[vgprValuB_X1_I0_D3+2], v[vgprValuB_X1_I0_D2+2], s[sgprPackKForV0] // select K=23 for vector=0
	;; [unrolled: 12-line block ×3, first 2 shown]
v_mfma_f32_16x16x16_f16 a[44+0:47+0], v[vgprValuB_X1_I0+2+0+0:vgprValuB_X1_I0+2+0+0+1], v[vgprValuA_X1_I0+6+0+0:vgprValuA_X1_I0+6+0+0+1], a[44:47]
/*  mfmaIndex:77  */
/* localReadsVacancy: latencyLeft 2 */
/* pack scheduling: packAIdx:16, packBIdx:4 */
v_perm_b32 v[vgprValuB_X1_I0+14], v[vgprValuB_X1_I0_D1+3], v[vgprValuB_X1_I0_D0+3], s[sgprPackKForV1] // select K=01 for vector=1
v_perm_b32 v[vgprValuB_X1_I0+15], v[vgprValuB_X1_I0_D3+3], v[vgprValuB_X1_I0_D2+3], s[sgprPackKForV1] // select K=23 for vector=1
v_mfma_f32_16x16x16_f16 a[40+0:43+0], v[vgprValuB_X1_I0+2+0+0:vgprValuB_X1_I0+2+0+0+1], v[vgprValuA_X1_I0+4+0+0:vgprValuA_X1_I0+4+0+0+1], a[40:43]
/*  mfmaIndex:78  */
/* localReadsVacancy: latencyLeft 2 */
v_mfma_f32_16x16x16_f16 a[36+0:39+0], v[vgprValuB_X1_I0+2+0+0:vgprValuB_X1_I0+2+0+0+1], v[vgprValuA_X1_I0+2+0+0:vgprValuA_X1_I0+2+0+0+1], a[36:39]
/*  mfmaIndex:79  */
/* localReadsVacancy: latencyLeft 2 */
	;; [unrolled: 3-line block ×50, first 2 shown]
v_mfma_f32_16x16x16_f16 a[224+0:227+0], v[vgprValuB_X1_I0+14+0+0:vgprValuB_X1_I0+14+0+0+1], v[vgprValuA_X1_I0+0+0+0:vgprValuA_X1_I0+0+0+0+1], a[224:227]
/* numPrefetchIter=0 */
/* dataAtIterA=0 numReadsIterA=2 skipReadsIterA=1 readsPerIterA=8 */
/* dataAtIterB=0 numReadsIterB=2 skipReadsIterB=1 readsPerIterB=8 */


/* closeLoop loopL finalLoop=0 tailLoop=1 */
s_sub_i32 s[sgprLoopCounterL], s[sgprLoopCounterL], 0x10 // dec counterL (tailLoop)
s_add_u32 s[sgprOrigLoopCounter], s[sgprOrigLoopCounter], 0x10 // inc counterL
s_cmp_le_i32 s[sgprLoopCounterL], 0x0              // counterL<=0
s_cbranch_scc1 TailLoopEndL_7                      // exit LoopL


/* iter 2 (last unrolled loop) */

/*  grEndMfmaIndex:0, lwStartMfmaIndex:228, lwEndMfmaIndex:228  */
/*  numMfmaForLR:22, barrierMfmaIndex:233, LocalWritePerMfma:0.090 */
/*  mfmaIndex:128  */
/* localReadsVacancy: latencyLeft 2 */
s_waitcnt lgkmcnt(0)                               // lgkmcnt=0 vmcnt=-1wait for prior local read local write old=0, new=0 newLW=0 newLR=0
/* pack scheduling: packAIdx:2, packBIdx:2 */
v_perm_b32 v[vgprValuA_X2_I0+0], v[vgprValuA_X2_I0_D1+0], v[vgprValuA_X2_I0_D0+0], s[sgprPackKForV0] // select K=01 for vector=0
v_perm_b32 v[vgprValuA_X2_I0+1], v[vgprValuA_X2_I0_D3+0], v[vgprValuA_X2_I0_D2+0], s[sgprPackKForV0] // select K=23 for vector=0
v_perm_b32 v[vgprValuB_X2_I0+0], v[vgprValuB_X2_I0_D1+0], v[vgprValuB_X2_I0_D0+0], s[sgprPackKForV0] // select K=01 for vector=0
v_perm_b32 v[vgprValuB_X2_I0+1], v[vgprValuB_X2_I0_D3+0], v[vgprValuB_X2_I0_D2+0], s[sgprPackKForV0] // select K=23 for vector=0
v_perm_b32 v[vgprValuA_X2_I0+2], v[vgprValuA_X2_I0_D1+0], v[vgprValuA_X2_I0_D0+0], s[sgprPackKForV1] // select K=01 for vector=1
v_perm_b32 v[vgprValuA_X2_I0+3], v[vgprValuA_X2_I0_D3+0], v[vgprValuA_X2_I0_D2+0], s[sgprPackKForV1] // select K=23 for vector=1
s_nop 1
v_mfma_f32_16x16x16_f16 a[0+0:3+0], v[vgprValuB_X2_I0+0+0+0:vgprValuB_X2_I0+0+0+0+1], v[vgprValuA_X2_I0+0+0+0:vgprValuA_X2_I0+0+0+0+1], a[0:3]
/*  mfmaIndex:129  */
/* localReadsVacancy: latencyLeft 2 */
/* pack scheduling: packAIdx:4, packBIdx:2 */
v_perm_b32 v[vgprValuA_X2_I0+4], v[vgprValuA_X2_I0_D1+1], v[vgprValuA_X2_I0_D0+1], s[sgprPackKForV0] // select K=01 for vector=0
v_perm_b32 v[vgprValuA_X2_I0+5], v[vgprValuA_X2_I0_D3+1], v[vgprValuA_X2_I0_D2+1], s[sgprPackKForV0] // select K=23 for vector=0
v_mfma_f32_16x16x16_f16 a[4+0:7+0], v[vgprValuB_X2_I0+0+0+0:vgprValuB_X2_I0+0+0+0+1], v[vgprValuA_X2_I0+2+0+0:vgprValuA_X2_I0+2+0+0+1], a[4:7]
/*  mfmaIndex:130  */
/* localReadsVacancy: latencyLeft 2 */
/* pack scheduling: packAIdx:6, packBIdx:2 */
v_perm_b32 v[vgprValuA_X2_I0+6], v[vgprValuA_X2_I0_D1+1], v[vgprValuA_X2_I0_D0+1], s[sgprPackKForV1] // select K=01 for vector=1
v_perm_b32 v[vgprValuA_X2_I0+7], v[vgprValuA_X2_I0_D3+1], v[vgprValuA_X2_I0_D2+1], s[sgprPackKForV1] // select K=23 for vector=1
v_mfma_f32_16x16x16_f16 a[8+0:11+0], v[vgprValuB_X2_I0+0+0+0:vgprValuB_X2_I0+0+0+0+1], v[vgprValuA_X2_I0+4+0+0:vgprValuA_X2_I0+4+0+0+1], a[8:11]
/*  mfmaIndex:131  */
/* localReadsVacancy: latencyLeft 2 */
/* pack scheduling: packAIdx:8, packBIdx:2 */
v_perm_b32 v[vgprValuA_X2_I0+8], v[vgprValuA_X2_I0_D1+2], v[vgprValuA_X2_I0_D0+2], s[sgprPackKForV0] // select K=01 for vector=0
v_perm_b32 v[vgprValuA_X2_I0+9], v[vgprValuA_X2_I0_D3+2], v[vgprValuA_X2_I0_D2+2], s[sgprPackKForV0] // select K=23 for vector=0
v_mfma_f32_16x16x16_f16 a[12+0:15+0], v[vgprValuB_X2_I0+0+0+0:vgprValuB_X2_I0+0+0+0+1], v[vgprValuA_X2_I0+6+0+0:vgprValuA_X2_I0+6+0+0+1], a[12:15]
/*  mfmaIndex:132  */
/* localReadsVacancy: latencyLeft 2 */
/* pack scheduling: packAIdx:10, packBIdx:2 */
v_perm_b32 v[vgprValuA_X2_I0+10], v[vgprValuA_X2_I0_D1+2], v[vgprValuA_X2_I0_D0+2], s[sgprPackKForV1] // select K=01 for vector=1
v_perm_b32 v[vgprValuA_X2_I0+11], v[vgprValuA_X2_I0_D3+2], v[vgprValuA_X2_I0_D2+2], s[sgprPackKForV1] // select K=23 for vector=1
	;; [unrolled: 12-line block ×3, first 2 shown]
v_mfma_f32_16x16x16_f16 a[24+0:27+0], v[vgprValuB_X2_I0+0+0+0:vgprValuB_X2_I0+0+0+0+1], v[vgprValuA_X2_I0+12+0+0:vgprValuA_X2_I0+12+0+0+1], a[24:27]
/*  mfmaIndex:135  */
/* localReadsVacancy: latencyLeft 2 */
/* pack scheduling: packAIdx:16, packBIdx:2 */
v_perm_b32 v[vgprValuB_X2_I0+2], v[vgprValuB_X2_I0_D1+0], v[vgprValuB_X2_I0_D0+0], s[sgprPackKForV1] // select K=01 for vector=1
v_perm_b32 v[vgprValuB_X2_I0+3], v[vgprValuB_X2_I0_D3+0], v[vgprValuB_X2_I0_D2+0], s[sgprPackKForV1] // select K=23 for vector=1
v_mfma_f32_16x16x16_f16 a[28+0:31+0], v[vgprValuB_X2_I0+0+0+0:vgprValuB_X2_I0+0+0+0+1], v[vgprValuA_X2_I0+14+0+0:vgprValuA_X2_I0+14+0+0+1], a[28:31]
/*  mfmaIndex:136  */
/* localReadsVacancy: latencyLeft 2 */
/* pack scheduling: packAIdx:16, packBIdx:4 */
v_perm_b32 v[vgprValuB_X2_I0+4], v[vgprValuB_X2_I0_D1+1], v[vgprValuB_X2_I0_D0+1], s[sgprPackKForV0] // select K=01 for vector=0
v_perm_b32 v[vgprValuB_X2_I0+5], v[vgprValuB_X2_I0_D3+1], v[vgprValuB_X2_I0_D2+1], s[sgprPackKForV0] // select K=23 for vector=0
v_mfma_f32_16x16x16_f16 a[60+0:63+0], v[vgprValuB_X2_I0+2+0+0:vgprValuB_X2_I0+2+0+0+1], v[vgprValuA_X2_I0+14+0+0:vgprValuA_X2_I0+14+0+0+1], a[60:63]
/*  mfmaIndex:137  */
/* localReadsVacancy: latencyLeft 2 */
/* pack scheduling: packAIdx:16, packBIdx:4 */
v_perm_b32 v[vgprValuB_X2_I0+6], v[vgprValuB_X2_I0_D1+1], v[vgprValuB_X2_I0_D0+1], s[sgprPackKForV1] // select K=01 for vector=1
v_perm_b32 v[vgprValuB_X2_I0+7], v[vgprValuB_X2_I0_D3+1], v[vgprValuB_X2_I0_D2+1], s[sgprPackKForV1] // select K=23 for vector=1
v_mfma_f32_16x16x16_f16 a[56+0:59+0], v[vgprValuB_X2_I0+2+0+0:vgprValuB_X2_I0+2+0+0+1], v[vgprValuA_X2_I0+12+0+0:vgprValuA_X2_I0+12+0+0+1], a[56:59]
/*  mfmaIndex:138  */
/* localReadsVacancy: latencyLeft 2 */
/* pack scheduling: packAIdx:16, packBIdx:4 */
v_perm_b32 v[vgprValuB_X2_I0+8], v[vgprValuB_X2_I0_D1+2], v[vgprValuB_X2_I0_D0+2], s[sgprPackKForV0] // select K=01 for vector=0
v_perm_b32 v[vgprValuB_X2_I0+9], v[vgprValuB_X2_I0_D3+2], v[vgprValuB_X2_I0_D2+2], s[sgprPackKForV0] // select K=23 for vector=0
v_mfma_f32_16x16x16_f16 a[52+0:55+0], v[vgprValuB_X2_I0+2+0+0:vgprValuB_X2_I0+2+0+0+1], v[vgprValuA_X2_I0+10+0+0:vgprValuA_X2_I0+10+0+0+1], a[52:55]
/*  mfmaIndex:139  */
/* localReadsVacancy: latencyLeft 2 */
/* pack scheduling: packAIdx:16, packBIdx:4 */
v_perm_b32 v[vgprValuB_X2_I0+10], v[vgprValuB_X2_I0_D1+2], v[vgprValuB_X2_I0_D0+2], s[sgprPackKForV1] // select K=01 for vector=1
v_perm_b32 v[vgprValuB_X2_I0+11], v[vgprValuB_X2_I0_D3+2], v[vgprValuB_X2_I0_D2+2], s[sgprPackKForV1] // select K=23 for vector=1
v_mfma_f32_16x16x16_f16 a[48+0:51+0], v[vgprValuB_X2_I0+2+0+0:vgprValuB_X2_I0+2+0+0+1], v[vgprValuA_X2_I0+8+0+0:vgprValuA_X2_I0+8+0+0+1], a[48:51]
/*  mfmaIndex:140  */
/* localReadsVacancy: latencyLeft 2 */
/* pack scheduling: packAIdx:16, packBIdx:4 */
v_perm_b32 v[vgprValuB_X2_I0+12], v[vgprValuB_X2_I0_D1+3], v[vgprValuB_X2_I0_D0+3], s[sgprPackKForV0] // select K=01 for vector=0
v_perm_b32 v[vgprValuB_X2_I0+13], v[vgprValuB_X2_I0_D3+3], v[vgprValuB_X2_I0_D2+3], s[sgprPackKForV0] // select K=23 for vector=0
v_mfma_f32_16x16x16_f16 a[44+0:47+0], v[vgprValuB_X2_I0+2+0+0:vgprValuB_X2_I0+2+0+0+1], v[vgprValuA_X2_I0+6+0+0:vgprValuA_X2_I0+6+0+0+1], a[44:47]
/*  mfmaIndex:141  */
/* localReadsVacancy: latencyLeft 2 */
/* pack scheduling: packAIdx:16, packBIdx:4 */
v_perm_b32 v[vgprValuB_X2_I0+14], v[vgprValuB_X2_I0_D1+3], v[vgprValuB_X2_I0_D0+3], s[sgprPackKForV1] // select K=01 for vector=1
v_perm_b32 v[vgprValuB_X2_I0+15], v[vgprValuB_X2_I0_D3+3], v[vgprValuB_X2_I0_D2+3], s[sgprPackKForV1] // select K=23 for vector=1
v_mfma_f32_16x16x16_f16 a[40+0:43+0], v[vgprValuB_X2_I0+2+0+0:vgprValuB_X2_I0+2+0+0+1], v[vgprValuA_X2_I0+4+0+0:vgprValuA_X2_I0+4+0+0+1], a[40:43]
/*  mfmaIndex:142  */
/* localReadsVacancy: latencyLeft 2 */
v_mfma_f32_16x16x16_f16 a[36+0:39+0], v[vgprValuB_X2_I0+2+0+0:vgprValuB_X2_I0+2+0+0+1], v[vgprValuA_X2_I0+2+0+0:vgprValuA_X2_I0+2+0+0+1], a[36:39]
/*  mfmaIndex:143  */
/* localReadsVacancy: latencyLeft 2 */
	;; [unrolled: 3-line block ×50, first 2 shown]
v_mfma_f32_16x16x16_f16 a[224+0:227+0], v[vgprValuB_X2_I0+14+0+0:vgprValuB_X2_I0+14+0+0+1], v[vgprValuA_X2_I0+0+0+0:vgprValuA_X2_I0+0+0+0+1], a[224:227]
/* numPrefetchIter=0 */
/* dataAtIterA=1 numReadsIterA=3 skipReadsIterA=1 readsPerIterA=8 */
/* dataAtIterB=1 numReadsIterB=3 skipReadsIterB=1 readsPerIterB=8 */


/* closeLoop loopL finalLoop=0 tailLoop=1 */
s_sub_i32 s[sgprLoopCounterL], s[sgprLoopCounterL], 0x10 // dec counterL (tailLoop)
s_add_u32 s[sgprOrigLoopCounter], s[sgprOrigLoopCounter], 0x10 // inc counterL
s_cmp_le_i32 s[sgprLoopCounterL], 0x0              // counterL<=0
s_cbranch_scc1 TailLoopEndL_7                      // exit LoopL


/* iter 3 (last unrolled loop) */

/*  grEndMfmaIndex:0, lwStartMfmaIndex:228, lwEndMfmaIndex:228  */
/*  numMfmaForLR:22, barrierMfmaIndex:233, LocalWritePerMfma:0.090 */
/*  mfmaIndex:192  */
s_waitcnt lgkmcnt(0)                               // lgkmcnt=0 vmcnt=-1wait for prior local read local write old=0, new=0 newLW=0 newLR=0
/* pack scheduling: packAIdx:2, packBIdx:2 */
v_perm_b32 v[vgprValuA_X3_I0+0], v[vgprValuA_X3_I0_D1+0], v[vgprValuA_X3_I0_D0+0], s[sgprPackKForV0] // select K=01 for vector=0
v_perm_b32 v[vgprValuA_X3_I0+1], v[vgprValuA_X3_I0_D3+0], v[vgprValuA_X3_I0_D2+0], s[sgprPackKForV0] // select K=23 for vector=0
v_perm_b32 v[vgprValuB_X3_I0+0], v[vgprValuB_X3_I0_D1+0], v[vgprValuB_X3_I0_D0+0], s[sgprPackKForV0] // select K=01 for vector=0
v_perm_b32 v[vgprValuB_X3_I0+1], v[vgprValuB_X3_I0_D3+0], v[vgprValuB_X3_I0_D2+0], s[sgprPackKForV0] // select K=23 for vector=0
v_perm_b32 v[vgprValuA_X3_I0+2], v[vgprValuA_X3_I0_D1+0], v[vgprValuA_X3_I0_D0+0], s[sgprPackKForV1] // select K=01 for vector=1
v_perm_b32 v[vgprValuA_X3_I0+3], v[vgprValuA_X3_I0_D3+0], v[vgprValuA_X3_I0_D2+0], s[sgprPackKForV1] // select K=23 for vector=1
s_nop 1
v_mfma_f32_16x16x16_f16 a[0+0:3+0], v[vgprValuB_X3_I0+0+0+0:vgprValuB_X3_I0+0+0+0+1], v[vgprValuA_X3_I0+0+0+0:vgprValuA_X3_I0+0+0+0+1], a[0:3]
/*  mfmaIndex:193  */
/* pack scheduling: packAIdx:4, packBIdx:2 */
v_perm_b32 v[vgprValuA_X3_I0+4], v[vgprValuA_X3_I0_D1+1], v[vgprValuA_X3_I0_D0+1], s[sgprPackKForV0] // select K=01 for vector=0
v_perm_b32 v[vgprValuA_X3_I0+5], v[vgprValuA_X3_I0_D3+1], v[vgprValuA_X3_I0_D2+1], s[sgprPackKForV0] // select K=23 for vector=0
v_mfma_f32_16x16x16_f16 a[4+0:7+0], v[vgprValuB_X3_I0+0+0+0:vgprValuB_X3_I0+0+0+0+1], v[vgprValuA_X3_I0+2+0+0:vgprValuA_X3_I0+2+0+0+1], a[4:7]
/*  mfmaIndex:194  */
/* pack scheduling: packAIdx:6, packBIdx:2 */
v_perm_b32 v[vgprValuA_X3_I0+6], v[vgprValuA_X3_I0_D1+1], v[vgprValuA_X3_I0_D0+1], s[sgprPackKForV1] // select K=01 for vector=1
v_perm_b32 v[vgprValuA_X3_I0+7], v[vgprValuA_X3_I0_D3+1], v[vgprValuA_X3_I0_D2+1], s[sgprPackKForV1] // select K=23 for vector=1
v_mfma_f32_16x16x16_f16 a[8+0:11+0], v[vgprValuB_X3_I0+0+0+0:vgprValuB_X3_I0+0+0+0+1], v[vgprValuA_X3_I0+4+0+0:vgprValuA_X3_I0+4+0+0+1], a[8:11]
/*  mfmaIndex:195  */
/* pack scheduling: packAIdx:8, packBIdx:2 */
v_perm_b32 v[vgprValuA_X3_I0+8], v[vgprValuA_X3_I0_D1+2], v[vgprValuA_X3_I0_D0+2], s[sgprPackKForV0] // select K=01 for vector=0
v_perm_b32 v[vgprValuA_X3_I0+9], v[vgprValuA_X3_I0_D3+2], v[vgprValuA_X3_I0_D2+2], s[sgprPackKForV0] // select K=23 for vector=0
v_mfma_f32_16x16x16_f16 a[12+0:15+0], v[vgprValuB_X3_I0+0+0+0:vgprValuB_X3_I0+0+0+0+1], v[vgprValuA_X3_I0+6+0+0:vgprValuA_X3_I0+6+0+0+1], a[12:15]
/*  mfmaIndex:196  */
/* pack scheduling: packAIdx:10, packBIdx:2 */
v_perm_b32 v[vgprValuA_X3_I0+10], v[vgprValuA_X3_I0_D1+2], v[vgprValuA_X3_I0_D0+2], s[sgprPackKForV1] // select K=01 for vector=1
v_perm_b32 v[vgprValuA_X3_I0+11], v[vgprValuA_X3_I0_D3+2], v[vgprValuA_X3_I0_D2+2], s[sgprPackKForV1] // select K=23 for vector=1
	;; [unrolled: 10-line block ×3, first 2 shown]
v_mfma_f32_16x16x16_f16 a[24+0:27+0], v[vgprValuB_X3_I0+0+0+0:vgprValuB_X3_I0+0+0+0+1], v[vgprValuA_X3_I0+12+0+0:vgprValuA_X3_I0+12+0+0+1], a[24:27]
/*  mfmaIndex:199  */
/* pack scheduling: packAIdx:16, packBIdx:2 */
v_perm_b32 v[vgprValuB_X3_I0+2], v[vgprValuB_X3_I0_D1+0], v[vgprValuB_X3_I0_D0+0], s[sgprPackKForV1] // select K=01 for vector=1
v_perm_b32 v[vgprValuB_X3_I0+3], v[vgprValuB_X3_I0_D3+0], v[vgprValuB_X3_I0_D2+0], s[sgprPackKForV1] // select K=23 for vector=1
v_mfma_f32_16x16x16_f16 a[28+0:31+0], v[vgprValuB_X3_I0+0+0+0:vgprValuB_X3_I0+0+0+0+1], v[vgprValuA_X3_I0+14+0+0:vgprValuA_X3_I0+14+0+0+1], a[28:31]
/*  mfmaIndex:200  */
/* pack scheduling: packAIdx:16, packBIdx:4 */
v_perm_b32 v[vgprValuB_X3_I0+4], v[vgprValuB_X3_I0_D1+1], v[vgprValuB_X3_I0_D0+1], s[sgprPackKForV0] // select K=01 for vector=0
v_perm_b32 v[vgprValuB_X3_I0+5], v[vgprValuB_X3_I0_D3+1], v[vgprValuB_X3_I0_D2+1], s[sgprPackKForV0] // select K=23 for vector=0
v_mfma_f32_16x16x16_f16 a[60+0:63+0], v[vgprValuB_X3_I0+2+0+0:vgprValuB_X3_I0+2+0+0+1], v[vgprValuA_X3_I0+14+0+0:vgprValuA_X3_I0+14+0+0+1], a[60:63]
/*  mfmaIndex:201  */
/* pack scheduling: packAIdx:16, packBIdx:4 */
v_perm_b32 v[vgprValuB_X3_I0+6], v[vgprValuB_X3_I0_D1+1], v[vgprValuB_X3_I0_D0+1], s[sgprPackKForV1] // select K=01 for vector=1
v_perm_b32 v[vgprValuB_X3_I0+7], v[vgprValuB_X3_I0_D3+1], v[vgprValuB_X3_I0_D2+1], s[sgprPackKForV1] // select K=23 for vector=1
v_mfma_f32_16x16x16_f16 a[56+0:59+0], v[vgprValuB_X3_I0+2+0+0:vgprValuB_X3_I0+2+0+0+1], v[vgprValuA_X3_I0+12+0+0:vgprValuA_X3_I0+12+0+0+1], a[56:59]
/*  mfmaIndex:202  */
/* pack scheduling: packAIdx:16, packBIdx:4 */
v_perm_b32 v[vgprValuB_X3_I0+8], v[vgprValuB_X3_I0_D1+2], v[vgprValuB_X3_I0_D0+2], s[sgprPackKForV0] // select K=01 for vector=0
v_perm_b32 v[vgprValuB_X3_I0+9], v[vgprValuB_X3_I0_D3+2], v[vgprValuB_X3_I0_D2+2], s[sgprPackKForV0] // select K=23 for vector=0
v_mfma_f32_16x16x16_f16 a[52+0:55+0], v[vgprValuB_X3_I0+2+0+0:vgprValuB_X3_I0+2+0+0+1], v[vgprValuA_X3_I0+10+0+0:vgprValuA_X3_I0+10+0+0+1], a[52:55]
/*  mfmaIndex:203  */
/* pack scheduling: packAIdx:16, packBIdx:4 */
v_perm_b32 v[vgprValuB_X3_I0+10], v[vgprValuB_X3_I0_D1+2], v[vgprValuB_X3_I0_D0+2], s[sgprPackKForV1] // select K=01 for vector=1
v_perm_b32 v[vgprValuB_X3_I0+11], v[vgprValuB_X3_I0_D3+2], v[vgprValuB_X3_I0_D2+2], s[sgprPackKForV1] // select K=23 for vector=1
v_mfma_f32_16x16x16_f16 a[48+0:51+0], v[vgprValuB_X3_I0+2+0+0:vgprValuB_X3_I0+2+0+0+1], v[vgprValuA_X3_I0+8+0+0:vgprValuA_X3_I0+8+0+0+1], a[48:51]
/*  mfmaIndex:204  */
/* pack scheduling: packAIdx:16, packBIdx:4 */
v_perm_b32 v[vgprValuB_X3_I0+12], v[vgprValuB_X3_I0_D1+3], v[vgprValuB_X3_I0_D0+3], s[sgprPackKForV0] // select K=01 for vector=0
v_perm_b32 v[vgprValuB_X3_I0+13], v[vgprValuB_X3_I0_D3+3], v[vgprValuB_X3_I0_D2+3], s[sgprPackKForV0] // select K=23 for vector=0
v_mfma_f32_16x16x16_f16 a[44+0:47+0], v[vgprValuB_X3_I0+2+0+0:vgprValuB_X3_I0+2+0+0+1], v[vgprValuA_X3_I0+6+0+0:vgprValuA_X3_I0+6+0+0+1], a[44:47]
/*  mfmaIndex:205  */
/* pack scheduling: packAIdx:16, packBIdx:4 */
v_perm_b32 v[vgprValuB_X3_I0+14], v[vgprValuB_X3_I0_D1+3], v[vgprValuB_X3_I0_D0+3], s[sgprPackKForV1] // select K=01 for vector=1
v_perm_b32 v[vgprValuB_X3_I0+15], v[vgprValuB_X3_I0_D3+3], v[vgprValuB_X3_I0_D2+3], s[sgprPackKForV1] // select K=23 for vector=1
v_mfma_f32_16x16x16_f16 a[40+0:43+0], v[vgprValuB_X3_I0+2+0+0:vgprValuB_X3_I0+2+0+0+1], v[vgprValuA_X3_I0+4+0+0:vgprValuA_X3_I0+4+0+0+1], a[40:43]
/*  mfmaIndex:206  */
v_mfma_f32_16x16x16_f16 a[36+0:39+0], v[vgprValuB_X3_I0+2+0+0:vgprValuB_X3_I0+2+0+0+1], v[vgprValuA_X3_I0+2+0+0:vgprValuA_X3_I0+2+0+0+1], a[36:39]
/*  mfmaIndex:207  */
	;; [unrolled: 2-line block ×22, first 2 shown]
/* 1 LDS buffer: read-sync-write */
s_waitcnt lgkmcnt(0)                               // 
s_barrier                                          // 
v_mfma_f32_16x16x16_f16 a[140+0:143+0], v[vgprValuB_X3_I0+8+0+0:vgprValuB_X3_I0+8+0+0+1], v[vgprValuA_X3_I0+6+0+0:vgprValuA_X3_I0+6+0+0+1], a[140:143]
/*  mfmaIndex:228  */
s_setprio 3                                        // store optimization
v_mfma_f32_16x16x16_f16 a[144+0:147+0], v[vgprValuB_X3_I0+8+0+0:vgprValuB_X3_I0+8+0+0+1], v[vgprValuA_X3_I0+8+0+0:vgprValuA_X3_I0+8+0+0+1], a[144:147]
/*  mfmaIndex:229  */
v_mfma_f32_16x16x16_f16 a[148+0:151+0], v[vgprValuB_X3_I0+8+0+0:vgprValuB_X3_I0+8+0+0+1], v[vgprValuA_X3_I0+10+0+0:vgprValuA_X3_I0+10+0+0+1], a[148:151]
/*  mfmaIndex:230  */
	;; [unrolled: 2-line block ×4, first 2 shown]
v_mfma_f32_16x16x16_f16 a[188+0:191+0], v[vgprValuB_X3_I0+10+0+0:vgprValuB_X3_I0+10+0+0+1], v[vgprValuA_X3_I0+14+0+0:vgprValuA_X3_I0+14+0+0+1], a[188:191]
s_setprio 0                                        // store optimization
/*  mfmaIndex:233  */
v_mfma_f32_16x16x16_f16 a[184+0:187+0], v[vgprValuB_X3_I0+10+0+0:vgprValuB_X3_I0+10+0+0+1], v[vgprValuA_X3_I0+12+0+0:vgprValuA_X3_I0+12+0+0+1], a[184:187]
/*  mfmaIndex:234  */
s_setprio 3                                        // store optimization
v_mfma_f32_16x16x16_f16 a[180+0:183+0], v[vgprValuB_X3_I0+10+0+0:vgprValuB_X3_I0+10+0+0+1], v[vgprValuA_X3_I0+10+0+0:vgprValuA_X3_I0+10+0+0+1], a[180:183]
/*  mfmaIndex:235  */
v_mfma_f32_16x16x16_f16 a[176+0:179+0], v[vgprValuB_X3_I0+10+0+0:vgprValuB_X3_I0+10+0+0+1], v[vgprValuA_X3_I0+8+0+0:vgprValuA_X3_I0+8+0+0+1], a[176:179]
/*  mfmaIndex:236  */
	;; [unrolled: 2-line block ×21, first 2 shown]
v_mfma_f32_16x16x16_f16 a[224+0:227+0], v[vgprValuB_X3_I0+14+0+0:vgprValuB_X3_I0+14+0+0+1], v[vgprValuA_X3_I0+0+0+0:vgprValuA_X3_I0+0+0+0+1], a[224:227]
/* numPrefetchIter=0 */
/* dataAtIterA=2 numReadsIterA=3 skipReadsIterA=0 readsPerIterA=8 */
/* dataAtIterB=2 numReadsIterB=3 skipReadsIterB=0 readsPerIterB=8 */

TailLoopEndL_7:

s_waitcnt lgkmcnt(0)                               // lgkmcnt=0 vmcnt=-113wait for remaining local read for tail loop in NLL

PrefetchGlobalLastIterEnd_5:

Summation_End_34:
s_setprio 0                                        // optimization store
/* endSummation: add vgpr [0...228) to pool */
.set NumFullBlocks, UNDEF
.set WgmRemainder1, UNDEF
.set MagicNumberWgmRemainder1, UNDEF
.set ScalarGlobalReadOffsetA, UNDEF
.set ScalarGlobalReadOffsetB, UNDEF

/* Mapping of Acc register -> C Vgpr register */


	;; [unrolled: 1-line block ×3, first 2 shown]
/* not-LocalSplitU: global write indices */

/* computeStoreVgprs */
v_lshrrev_b32 v4, 6, v[vgprSerial]                 // v4 = v[vgprSerial] / 64
v_and_b32 v1, 63, v[vgprSerial]                    // v1 = v[vgprSerial] % 64
v_lshrrev_b32 v1, 4, v1                            // v1 = v1 / 16
v_lshlrev_b32 v1, 0x2, v1                          // thread0 * continuous_output
v_lshrrev_b32 v5, 1, v4                            // v5 = v4 / 2
v_mul_lo_u32 v5, 0x10, v5                          // wave coordination offset 1
_v_add_lshl_u32 v1, v5, v1, 2                      // coordination 1 = vwb *(wave_id1 + tid1)
v_mul_lo_u32 v2, v1, s[sgprStrideC1J]              //  offset 1
v_mul_lo_u32 v3, v1, s[sgprStrideD1J]              //  offset 1
v_and_b32 v5, 1, v4                                // v5 = v4 % 2
v_mul_lo_u32 v5, 0x10, v5                          // wave coordination offset 0
v_and_b32 v0, 15, v[vgprSerial]                    // v0 = v[vgprSerial] % 16
_v_add_lshl_u32 v0, v5, v0, 2                      // coordination 0 = vwa *(wave_id0 + tid0)
s_mul_i32 s33, 256, s[sgprWorkGroup0]              // wgp0 * MT0
_v_add_u32 v0, s33, v0                             // coord 0 = (tid0/MI_m)*4 + waveG0*MIB_m + MT0*SG0
s_mul_i32 s33, 256, s[sgprWorkGroup1]              // wgp1 * MT1
_v_add_u32 v1, s33, v1                             // coord 1 = (tid0%MI_m) + waveG1*MIB_n + MT1*SG1


/* not-LocalSplitU: global write */

s_cmpk_eq_u32 s[sgprBeta], 0x0                     // Beta == 0
s_cbranch_scc0 GW_Beta_49                          // Branch if Beta is not zero

s_and_b32 s52, 255, s[sgprSizeI]                   // s52 = s[sgprSizeI] % 256
s_add_u32 s53, -0x1, s[sgprNumWorkGroups0]         // 
s_cmp_ge_u32 s[sgprWorkGroup0], s53                // wg0 >= nwg0-1 ?
s_cselect_b32 s52, s52, 0                          // set rMT0
s_cmpk_gt_u32 s52, 0x0                             // rMT0 > 0
s_cbranch_scc1 GW_B0_E1_40                         // jump if edges required
s_and_b32 s52, 255, s[sgprSizeJ]                   // s52 = s[sgprSizeJ] % 256
s_add_u32 s53, -0x1, s[sgprNumWorkGroups1]         // 
s_cmp_ge_u32 s[sgprWorkGroup1], s53                // wg1 >= nwg1-1
s_cselect_b32 s52, s52, 0                          // set rMT1
s_cmpk_gt_u32 s52, 0x0                             // rMT1 > 0
s_cbranch_scc1 GW_B0_E1_40                         // jump if edges required
GW_B0_E0_37:

/* edge=0, allocate 2 sgpr. perBatchTmpS=2 perBatchMaskS=0 perElementMaskS=0 elementsPerBatch=60 */
/* optSingleColVgpr=1 optSharedColVgpr=0 optSGPRUsage=BufferLoad_Mask optSrdIncForRow=1 */

/******************************************/
/* Global Write Alpha Batch #0 (d1,d0,vc1,vc0) = */
/*    (0,0,0,0:vw4); (0,1,0,0:vw4); (0,0,1,0:vw4); (0,1,1,0:vw4); (0,0,2,0:vw4); (0,1,2,0:vw4); (0,0,3,0:vw4); (0,1,3,0:vw4); (0,0,4,0:vw4); (0,1,4,0:vw4); (0,0,5,0:vw4); (0,1,5,0:vw4); (0,0,6,0:vw4); (0,1,6,0:vw4); (0,0,7,0:vw4); (0,1,7,0:vw4); (0,0,8,0:vw4); (0,1,8,0:vw4); (0,0,9,0:vw4); (0,1,9,0:vw4); (0,0,10,0:vw4); (0,1,10,0:vw4); (0,0,11,0:vw4); (0,1,11,0:vw4); (0,0,12,0:vw4); (0,1,12,0:vw4); (0,0,13,0:vw4); (0,1,13,0:vw4); (0,0,14,0:vw4); (0,1,14,0:vw4); (0,0,15,0:vw4); (0,1,15,0:vw4); (1,0,0,0:vw4); (1,1,0,0:vw4); (1,0,1,0:vw4); (1,1,1,0:vw4); (1,0,2,0:vw4); (1,1,2,0:vw4); (1,0,3,0:vw4); (1,1,3,0:vw4); (1,0,4,0:vw4); (1,1,4,0:vw4); (1,0,5,0:vw4); (1,1,5,0:vw4); (1,0,6,0:vw4); (1,1,6,0:vw4); (1,0,7,0:vw4); (1,1,7,0:vw4); (1,0,8,0:vw4); (1,1,8,0:vw4); (1,0,9,0:vw4); (1,1,9,0:vw4); (1,0,10,0:vw4); (1,1,10,0:vw4); (1,0,11,0:vw4); (1,1,11,0:vw4); (1,0,12,0:vw4); (1,1,12,0:vw4); (1,0,13,0:vw4); (1,1,13,0:vw4) */
/******************************************/

/* calc coords, apply mask, and issue loads (if necessary) */
/* (d1,vc1,d0,vc0)=(0,0,0,0) */
/* (d1,vc1,d0,vc0)=(0,0,1,0) */
	;; [unrolled: 1-line block ×60, first 2 shown]
_v_add_lshl_u32 v6, v3, v0, 0x1                    // optSingleColVgpr scaleToBpe: sharedAddrVgpr <- cinRowPtr + coord0, scaled by BPE. BSHERE:coord0=0, coord0Vgpr=0
v_accvgpr_read_b32 v[vgprValuC+8], acc0 // copy acc to vreg[0]
v_accvgpr_read_b32 v[vgprValuC+9], acc4 // copy acc to vreg[1]
v_accvgpr_read_b32 v[vgprValuC+10], acc8 // copy acc to vreg[2]
v_accvgpr_read_b32 v[vgprValuC+11], acc12 // copy acc to vreg[3]
v_accvgpr_read_b32 v[vgprValuC+12], acc16 // copy acc to vreg[4]
v_accvgpr_read_b32 v[vgprValuC+13], acc20 // copy acc to vreg[5]
v_accvgpr_read_b32 v[vgprValuC+14], acc24 // copy acc to vreg[6]
v_accvgpr_read_b32 v[vgprValuC+15], acc28 // copy acc to vreg[7]
v_accvgpr_read_b32 v[vgprValuC+16], acc32 // copy acc to vreg[8]
v_accvgpr_read_b32 v[vgprValuC+17], acc36 // copy acc to vreg[9]
v_accvgpr_read_b32 v[vgprValuC+18], acc40 // copy acc to vreg[10]
v_accvgpr_read_b32 v[vgprValuC+19], acc44 // copy acc to vreg[11]
v_accvgpr_read_b32 v[vgprValuC+20], acc48 // copy acc to vreg[12]
v_accvgpr_read_b32 v[vgprValuC+21], acc52 // copy acc to vreg[13]
v_accvgpr_read_b32 v[vgprValuC+22], acc56 // copy acc to vreg[14]
v_accvgpr_read_b32 v[vgprValuC+23], acc60 // copy acc to vreg[15]
v_accvgpr_read_b32 v[vgprValuC+24], acc64 // copy acc to vreg[16]
v_accvgpr_read_b32 v[vgprValuC+25], acc68 // copy acc to vreg[17]
v_accvgpr_read_b32 v[vgprValuC+26], acc72 // copy acc to vreg[18]
v_accvgpr_read_b32 v[vgprValuC+27], acc76 // copy acc to vreg[19]
v_accvgpr_read_b32 v[vgprValuC+28], acc80 // copy acc to vreg[20]
v_accvgpr_read_b32 v[vgprValuC+29], acc84 // copy acc to vreg[21]
v_accvgpr_read_b32 v[vgprValuC+30], acc88 // copy acc to vreg[22]
v_accvgpr_read_b32 v[vgprValuC+31], acc92 // copy acc to vreg[23]
v_accvgpr_read_b32 v[vgprValuC+32], acc96 // copy acc to vreg[24]
v_accvgpr_read_b32 v[vgprValuC+33], acc100 // copy acc to vreg[25]
v_accvgpr_read_b32 v[vgprValuC+34], acc104 // copy acc to vreg[26]
v_accvgpr_read_b32 v[vgprValuC+35], acc108 // copy acc to vreg[27]
v_accvgpr_read_b32 v[vgprValuC+36], acc112 // copy acc to vreg[28]
v_accvgpr_read_b32 v[vgprValuC+37], acc116 // copy acc to vreg[29]
v_accvgpr_read_b32 v[vgprValuC+38], acc120 // copy acc to vreg[30]
v_accvgpr_read_b32 v[vgprValuC+39], acc124 // copy acc to vreg[31]
v_accvgpr_read_b32 v[vgprValuC+40], acc1 // copy acc to vreg[32]
v_accvgpr_read_b32 v[vgprValuC+41], acc5 // copy acc to vreg[33]
v_accvgpr_read_b32 v[vgprValuC+42], acc9 // copy acc to vreg[34]
v_accvgpr_read_b32 v[vgprValuC+43], acc13 // copy acc to vreg[35]
v_accvgpr_read_b32 v[vgprValuC+44], acc17 // copy acc to vreg[36]
v_accvgpr_read_b32 v[vgprValuC+45], acc21 // copy acc to vreg[37]
v_accvgpr_read_b32 v[vgprValuC+46], acc25 // copy acc to vreg[38]
v_accvgpr_read_b32 v[vgprValuC+47], acc29 // copy acc to vreg[39]
v_accvgpr_read_b32 v[vgprValuC+48], acc33 // copy acc to vreg[40]
v_accvgpr_read_b32 v[vgprValuC+49], acc37 // copy acc to vreg[41]
v_accvgpr_read_b32 v[vgprValuC+50], acc41 // copy acc to vreg[42]
v_accvgpr_read_b32 v[vgprValuC+51], acc45 // copy acc to vreg[43]
v_accvgpr_read_b32 v[vgprValuC+52], acc49 // copy acc to vreg[44]
v_accvgpr_read_b32 v[vgprValuC+53], acc53 // copy acc to vreg[45]
v_accvgpr_read_b32 v[vgprValuC+54], acc57 // copy acc to vreg[46]
v_accvgpr_read_b32 v[vgprValuC+55], acc61 // copy acc to vreg[47]
v_accvgpr_read_b32 v[vgprValuC+56], acc65 // copy acc to vreg[48]
v_accvgpr_read_b32 v[vgprValuC+57], acc69 // copy acc to vreg[49]
v_accvgpr_read_b32 v[vgprValuC+58], acc73 // copy acc to vreg[50]
v_accvgpr_read_b32 v[vgprValuC+59], acc77 // copy acc to vreg[51]
v_accvgpr_read_b32 v[vgprValuC+60], acc81 // copy acc to vreg[52]
v_accvgpr_read_b32 v[vgprValuC+61], acc85 // copy acc to vreg[53]
v_accvgpr_read_b32 v[vgprValuC+62], acc89 // copy acc to vreg[54]
v_accvgpr_read_b32 v[vgprValuC+63], acc93 // copy acc to vreg[55]
v_accvgpr_read_b32 v[vgprValuC+64], acc97 // copy acc to vreg[56]
v_accvgpr_read_b32 v[vgprValuC+65], acc101 // copy acc to vreg[57]
v_accvgpr_read_b32 v[vgprValuC+66], acc105 // copy acc to vreg[58]
v_accvgpr_read_b32 v[vgprValuC+67], acc109 // copy acc to vreg[59]
v_accvgpr_read_b32 v[vgprValuC+68], acc113 // copy acc to vreg[60]
v_accvgpr_read_b32 v[vgprValuC+69], acc117 // copy acc to vreg[61]
v_accvgpr_read_b32 v[vgprValuC+70], acc121 // copy acc to vreg[62]
v_accvgpr_read_b32 v[vgprValuC+71], acc125 // copy acc to vreg[63]
v_accvgpr_read_b32 v[vgprValuC+72], acc2 // copy acc to vreg[64]
v_accvgpr_read_b32 v[vgprValuC+73], acc6 // copy acc to vreg[65]
v_accvgpr_read_b32 v[vgprValuC+74], acc10 // copy acc to vreg[66]
v_accvgpr_read_b32 v[vgprValuC+75], acc14 // copy acc to vreg[67]
v_accvgpr_read_b32 v[vgprValuC+76], acc18 // copy acc to vreg[68]
v_accvgpr_read_b32 v[vgprValuC+77], acc22 // copy acc to vreg[69]
v_accvgpr_read_b32 v[vgprValuC+78], acc26 // copy acc to vreg[70]
v_accvgpr_read_b32 v[vgprValuC+79], acc30 // copy acc to vreg[71]
v_accvgpr_read_b32 v[vgprValuC+80], acc34 // copy acc to vreg[72]
v_accvgpr_read_b32 v[vgprValuC+81], acc38 // copy acc to vreg[73]
v_accvgpr_read_b32 v[vgprValuC+82], acc42 // copy acc to vreg[74]
v_accvgpr_read_b32 v[vgprValuC+83], acc46 // copy acc to vreg[75]
v_accvgpr_read_b32 v[vgprValuC+84], acc50 // copy acc to vreg[76]
v_accvgpr_read_b32 v[vgprValuC+85], acc54 // copy acc to vreg[77]
v_accvgpr_read_b32 v[vgprValuC+86], acc58 // copy acc to vreg[78]
v_accvgpr_read_b32 v[vgprValuC+87], acc62 // copy acc to vreg[79]
v_accvgpr_read_b32 v[vgprValuC+88], acc66 // copy acc to vreg[80]
v_accvgpr_read_b32 v[vgprValuC+89], acc70 // copy acc to vreg[81]
v_accvgpr_read_b32 v[vgprValuC+90], acc74 // copy acc to vreg[82]
v_accvgpr_read_b32 v[vgprValuC+91], acc78 // copy acc to vreg[83]
v_accvgpr_read_b32 v[vgprValuC+92], acc82 // copy acc to vreg[84]
v_accvgpr_read_b32 v[vgprValuC+93], acc86 // copy acc to vreg[85]
v_accvgpr_read_b32 v[vgprValuC+94], acc90 // copy acc to vreg[86]
v_accvgpr_read_b32 v[vgprValuC+95], acc94 // copy acc to vreg[87]
v_accvgpr_read_b32 v[vgprValuC+96], acc98 // copy acc to vreg[88]
v_accvgpr_read_b32 v[vgprValuC+97], acc102 // copy acc to vreg[89]
v_accvgpr_read_b32 v[vgprValuC+98], acc106 // copy acc to vreg[90]
v_accvgpr_read_b32 v[vgprValuC+99], acc110 // copy acc to vreg[91]
v_accvgpr_read_b32 v[vgprValuC+100], acc114 // copy acc to vreg[92]
v_accvgpr_read_b32 v[vgprValuC+101], acc118 // copy acc to vreg[93]
v_accvgpr_read_b32 v[vgprValuC+102], acc122 // copy acc to vreg[94]
v_accvgpr_read_b32 v[vgprValuC+103], acc126 // copy acc to vreg[95]
v_accvgpr_read_b32 v[vgprValuC+104], acc3 // copy acc to vreg[96]
v_accvgpr_read_b32 v[vgprValuC+105], acc7 // copy acc to vreg[97]
v_accvgpr_read_b32 v[vgprValuC+106], acc11 // copy acc to vreg[98]
v_accvgpr_read_b32 v[vgprValuC+107], acc15 // copy acc to vreg[99]
v_accvgpr_read_b32 v[vgprValuC+108], acc19 // copy acc to vreg[100]
v_accvgpr_read_b32 v[vgprValuC+109], acc23 // copy acc to vreg[101]
v_accvgpr_read_b32 v[vgprValuC+110], acc27 // copy acc to vreg[102]
v_accvgpr_read_b32 v[vgprValuC+111], acc31 // copy acc to vreg[103]
v_accvgpr_read_b32 v[vgprValuC+112], acc35 // copy acc to vreg[104]
v_accvgpr_read_b32 v[vgprValuC+113], acc39 // copy acc to vreg[105]
v_accvgpr_read_b32 v[vgprValuC+114], acc43 // copy acc to vreg[106]
v_accvgpr_read_b32 v[vgprValuC+115], acc47 // copy acc to vreg[107]
v_accvgpr_read_b32 v[vgprValuC+116], acc51 // copy acc to vreg[108]
v_accvgpr_read_b32 v[vgprValuC+117], acc55 // copy acc to vreg[109]
v_accvgpr_read_b32 v[vgprValuC+118], acc59 // copy acc to vreg[110]
v_accvgpr_read_b32 v[vgprValuC+119], acc63 // copy acc to vreg[111]
v_accvgpr_read_b32 v[vgprValuC+120], acc67 // copy acc to vreg[112]
v_accvgpr_read_b32 v[vgprValuC+121], acc71 // copy acc to vreg[113]
v_accvgpr_read_b32 v[vgprValuC+122], acc75 // copy acc to vreg[114]
v_accvgpr_read_b32 v[vgprValuC+123], acc79 // copy acc to vreg[115]
v_accvgpr_read_b32 v[vgprValuC+124], acc83 // copy acc to vreg[116]
v_accvgpr_read_b32 v[vgprValuC+125], acc87 // copy acc to vreg[117]
v_accvgpr_read_b32 v[vgprValuC+126], acc91 // copy acc to vreg[118]
v_accvgpr_read_b32 v[vgprValuC+127], acc95 // copy acc to vreg[119]
v_accvgpr_read_b32 v[vgprValuC+128], acc99 // copy acc to vreg[120]
v_accvgpr_read_b32 v[vgprValuC+129], acc103 // copy acc to vreg[121]
v_accvgpr_read_b32 v[vgprValuC+130], acc107 // copy acc to vreg[122]
v_accvgpr_read_b32 v[vgprValuC+131], acc111 // copy acc to vreg[123]
v_accvgpr_read_b32 v[vgprValuC+132], acc115 // copy acc to vreg[124]
v_accvgpr_read_b32 v[vgprValuC+133], acc119 // copy acc to vreg[125]
v_accvgpr_read_b32 v[vgprValuC+134], acc123 // copy acc to vreg[126]
v_accvgpr_read_b32 v[vgprValuC+135], acc127 // copy acc to vreg[127]
v_accvgpr_read_b32 v[vgprValuC+136], acc128 // copy acc to vreg[128]
v_accvgpr_read_b32 v[vgprValuC+137], acc132 // copy acc to vreg[129]
v_accvgpr_read_b32 v[vgprValuC+138], acc136 // copy acc to vreg[130]
v_accvgpr_read_b32 v[vgprValuC+139], acc140 // copy acc to vreg[131]
v_accvgpr_read_b32 v[vgprValuC+140], acc144 // copy acc to vreg[132]
v_accvgpr_read_b32 v[vgprValuC+141], acc148 // copy acc to vreg[133]
v_accvgpr_read_b32 v[vgprValuC+142], acc152 // copy acc to vreg[134]
v_accvgpr_read_b32 v[vgprValuC+143], acc156 // copy acc to vreg[135]
v_accvgpr_read_b32 v[vgprValuC+144], acc160 // copy acc to vreg[136]
v_accvgpr_read_b32 v[vgprValuC+145], acc164 // copy acc to vreg[137]
v_accvgpr_read_b32 v[vgprValuC+146], acc168 // copy acc to vreg[138]
v_accvgpr_read_b32 v[vgprValuC+147], acc172 // copy acc to vreg[139]
v_accvgpr_read_b32 v[vgprValuC+148], acc176 // copy acc to vreg[140]
v_accvgpr_read_b32 v[vgprValuC+149], acc180 // copy acc to vreg[141]
v_accvgpr_read_b32 v[vgprValuC+150], acc184 // copy acc to vreg[142]
v_accvgpr_read_b32 v[vgprValuC+151], acc188 // copy acc to vreg[143]
v_accvgpr_read_b32 v[vgprValuC+152], acc192 // copy acc to vreg[144]
v_accvgpr_read_b32 v[vgprValuC+153], acc196 // copy acc to vreg[145]
v_accvgpr_read_b32 v[vgprValuC+154], acc200 // copy acc to vreg[146]
v_accvgpr_read_b32 v[vgprValuC+155], acc204 // copy acc to vreg[147]
v_accvgpr_read_b32 v[vgprValuC+156], acc208 // copy acc to vreg[148]
v_accvgpr_read_b32 v[vgprValuC+157], acc212 // copy acc to vreg[149]
v_accvgpr_read_b32 v[vgprValuC+158], acc216 // copy acc to vreg[150]
v_accvgpr_read_b32 v[vgprValuC+159], acc220 // copy acc to vreg[151]
v_accvgpr_read_b32 v[vgprValuC+160], acc224 // copy acc to vreg[152]
v_accvgpr_read_b32 v[vgprValuC+161], acc228 // copy acc to vreg[153]
v_accvgpr_read_b32 v[vgprValuC+162], acc232 // copy acc to vreg[154]
v_accvgpr_read_b32 v[vgprValuC+163], acc236 // copy acc to vreg[155]
v_accvgpr_read_b32 v[vgprValuC+164], acc240 // copy acc to vreg[156]
v_accvgpr_read_b32 v[vgprValuC+165], acc244 // copy acc to vreg[157]
v_accvgpr_read_b32 v[vgprValuC+166], acc248 // copy acc to vreg[158]
v_accvgpr_read_b32 v[vgprValuC+167], acc252 // copy acc to vreg[159]
v_accvgpr_read_b32 v[vgprValuC+168], acc129 // copy acc to vreg[160]
v_accvgpr_read_b32 v[vgprValuC+169], acc133 // copy acc to vreg[161]
v_accvgpr_read_b32 v[vgprValuC+170], acc137 // copy acc to vreg[162]
v_accvgpr_read_b32 v[vgprValuC+171], acc141 // copy acc to vreg[163]
v_accvgpr_read_b32 v[vgprValuC+172], acc145 // copy acc to vreg[164]
v_accvgpr_read_b32 v[vgprValuC+173], acc149 // copy acc to vreg[165]
v_accvgpr_read_b32 v[vgprValuC+174], acc153 // copy acc to vreg[166]
v_accvgpr_read_b32 v[vgprValuC+175], acc157 // copy acc to vreg[167]
v_accvgpr_read_b32 v[vgprValuC+176], acc161 // copy acc to vreg[168]
v_accvgpr_read_b32 v[vgprValuC+177], acc165 // copy acc to vreg[169]
v_accvgpr_read_b32 v[vgprValuC+178], acc169 // copy acc to vreg[170]
v_accvgpr_read_b32 v[vgprValuC+179], acc173 // copy acc to vreg[171]
v_accvgpr_read_b32 v[vgprValuC+180], acc177 // copy acc to vreg[172]
v_accvgpr_read_b32 v[vgprValuC+181], acc181 // copy acc to vreg[173]
v_accvgpr_read_b32 v[vgprValuC+182], acc185 // copy acc to vreg[174]
v_accvgpr_read_b32 v[vgprValuC+183], acc189 // copy acc to vreg[175]
v_accvgpr_read_b32 v[vgprValuC+184], acc193 // copy acc to vreg[176]
v_accvgpr_read_b32 v[vgprValuC+185], acc197 // copy acc to vreg[177]
v_accvgpr_read_b32 v[vgprValuC+186], acc201 // copy acc to vreg[178]
v_accvgpr_read_b32 v[vgprValuC+187], acc205 // copy acc to vreg[179]
v_accvgpr_read_b32 v[vgprValuC+188], acc209 // copy acc to vreg[180]
v_accvgpr_read_b32 v[vgprValuC+189], acc213 // copy acc to vreg[181]
v_accvgpr_read_b32 v[vgprValuC+190], acc217 // copy acc to vreg[182]
v_accvgpr_read_b32 v[vgprValuC+191], acc221 // copy acc to vreg[183]
v_accvgpr_read_b32 v[vgprValuC+192], acc225 // copy acc to vreg[184]
v_accvgpr_read_b32 v[vgprValuC+193], acc229 // copy acc to vreg[185]
v_accvgpr_read_b32 v[vgprValuC+194], acc233 // copy acc to vreg[186]
v_accvgpr_read_b32 v[vgprValuC+195], acc237 // copy acc to vreg[187]
v_accvgpr_read_b32 v[vgprValuC+196], acc241 // copy acc to vreg[188]
v_accvgpr_read_b32 v[vgprValuC+197], acc245 // copy acc to vreg[189]
v_accvgpr_read_b32 v[vgprValuC+198], acc249 // copy acc to vreg[190]
v_accvgpr_read_b32 v[vgprValuC+199], acc253 // copy acc to vreg[191]
v_accvgpr_read_b32 v[vgprValuC+200], acc130 // copy acc to vreg[192]
v_accvgpr_read_b32 v[vgprValuC+201], acc134 // copy acc to vreg[193]
v_accvgpr_read_b32 v[vgprValuC+202], acc138 // copy acc to vreg[194]
v_accvgpr_read_b32 v[vgprValuC+203], acc142 // copy acc to vreg[195]
v_accvgpr_read_b32 v[vgprValuC+204], acc146 // copy acc to vreg[196]
v_accvgpr_read_b32 v[vgprValuC+205], acc150 // copy acc to vreg[197]
v_accvgpr_read_b32 v[vgprValuC+206], acc154 // copy acc to vreg[198]
v_accvgpr_read_b32 v[vgprValuC+207], acc158 // copy acc to vreg[199]
v_accvgpr_read_b32 v[vgprValuC+208], acc162 // copy acc to vreg[200]
v_accvgpr_read_b32 v[vgprValuC+209], acc166 // copy acc to vreg[201]
v_accvgpr_read_b32 v[vgprValuC+210], acc170 // copy acc to vreg[202]
v_accvgpr_read_b32 v[vgprValuC+211], acc174 // copy acc to vreg[203]
v_accvgpr_read_b32 v[vgprValuC+212], acc178 // copy acc to vreg[204]
v_accvgpr_read_b32 v[vgprValuC+213], acc182 // copy acc to vreg[205]
v_accvgpr_read_b32 v[vgprValuC+214], acc186 // copy acc to vreg[206]
v_accvgpr_read_b32 v[vgprValuC+215], acc190 // copy acc to vreg[207]
v_accvgpr_read_b32 v[vgprValuC+216], acc194 // copy acc to vreg[208]
v_accvgpr_read_b32 v[vgprValuC+217], acc198 // copy acc to vreg[209]
v_accvgpr_read_b32 v[vgprValuC+218], acc202 // copy acc to vreg[210]
v_accvgpr_read_b32 v[vgprValuC+219], acc206 // copy acc to vreg[211]
v_accvgpr_read_b32 v[vgprValuC+220], acc210 // copy acc to vreg[212]
v_accvgpr_read_b32 v[vgprValuC+221], acc214 // copy acc to vreg[213]
v_accvgpr_read_b32 v[vgprValuC+222], acc218 // copy acc to vreg[214]
v_accvgpr_read_b32 v[vgprValuC+223], acc222 // copy acc to vreg[215]
v_accvgpr_read_b32 v[vgprValuC+224], acc226 // copy acc to vreg[216]
v_accvgpr_read_b32 v[vgprValuC+225], acc230 // copy acc to vreg[217]
v_accvgpr_read_b32 v[vgprValuC+226], acc234 // copy acc to vreg[218]
v_accvgpr_read_b32 v[vgprValuC+227], acc238 // copy acc to vreg[219]
v_accvgpr_read_b32 v[vgprValuC+232], acc242 // copy acc to vreg[220]
v_accvgpr_read_b32 v[vgprValuC+233], acc246 // copy acc to vreg[221]
v_accvgpr_read_b32 v[vgprValuC+234], acc250 // copy acc to vreg[222]
v_accvgpr_read_b32 v[vgprValuC+235], acc254 // copy acc to vreg[223]
v_accvgpr_read_b32 v[vgprValuC+236], acc131 // copy acc to vreg[224]
v_accvgpr_read_b32 v[vgprValuC+237], acc135 // copy acc to vreg[225]
v_accvgpr_read_b32 v[vgprValuC+238], acc139 // copy acc to vreg[226]
v_accvgpr_read_b32 v[vgprValuC+239], acc143 // copy acc to vreg[227]
v_accvgpr_read_b32 v[vgprValuC+240], acc147 // copy acc to vreg[228]
v_accvgpr_read_b32 v[vgprValuC+241], acc151 // copy acc to vreg[229]
v_accvgpr_read_b32 v[vgprValuC+242], acc155 // copy acc to vreg[230]
v_accvgpr_read_b32 v[vgprValuC+243], acc159 // copy acc to vreg[231]
v_accvgpr_read_b32 v[vgprValuC+244], acc163 // copy acc to vreg[232]
v_accvgpr_read_b32 v[vgprValuC+245], acc167 // copy acc to vreg[233]
v_accvgpr_read_b32 v[vgprValuC+246], acc171 // copy acc to vreg[234]
v_accvgpr_read_b32 v[vgprValuC+247], acc175 // copy acc to vreg[235]
v_accvgpr_read_b32 v[vgprValuC+248], acc179 // copy acc to vreg[236]
v_accvgpr_read_b32 v[vgprValuC+249], acc183 // copy acc to vreg[237]
v_accvgpr_read_b32 v[vgprValuC+250], acc187 // copy acc to vreg[238]
v_accvgpr_read_b32 v[vgprValuC+251], acc191 // copy acc to vreg[239]
s_nop 1                                            // 2 wait states required before reading vgpr

/* rC *= alpha batchElements=[(0, 0, 0, 0), (0, 1, 0, 0), (0, 0, 1, 0), (0, 1, 1, 0), (0, 0, 2, 0), (0, 1, 2, 0), (0, 0, 3, 0), (0, 1, 3, 0), (0, 0, 4, 0), (0, 1, 4, 0), (0, 0, 5, 0), (0, 1, 5, 0), (0, 0, 6, 0), (0, 1, 6, 0), (0, 0, 7, 0), (0, 1, 7, 0), (0, 0, 8, 0), (0, 1, 8, 0), (0, 0, 9, 0), (0, 1, 9, 0), (0, 0, 10, 0), (0, 1, 10, 0), (0, 0, 11, 0), (0, 1, 11, 0), (0, 0, 12, 0), (0, 1, 12, 0), (0, 0, 13, 0), (0, 1, 13, 0), (0, 0, 14, 0), (0, 1, 14, 0), (0, 0, 15, 0), (0, 1, 15, 0), (1, 0, 0, 0), (1, 1, 0, 0), (1, 0, 1, 0), (1, 1, 1, 0), (1, 0, 2, 0), (1, 1, 2, 0), (1, 0, 3, 0), (1, 1, 3, 0), (1, 0, 4, 0), (1, 1, 4, 0), (1, 0, 5, 0), (1, 1, 5, 0), (1, 0, 6, 0), (1, 1, 6, 0), (1, 0, 7, 0), (1, 1, 7, 0), (1, 0, 8, 0), (1, 1, 8, 0), (1, 0, 9, 0), (1, 1, 9, 0), (1, 0, 10, 0), (1, 1, 10, 0), (1, 0, 11, 0), (1, 1, 11, 0), (1, 0, 12, 0), (1, 1, 12, 0), (1, 0, 13, 0), (1, 1, 13, 0)] */
v_mul_f32 v[vgprValuC+8], s[sgprAlpha], v[vgprValuC+8] // *= alpha
v_mul_f32 v[vgprValuC+9], s[sgprAlpha], v[vgprValuC+9] // *= alpha
	;; [unrolled: 1-line block ×240, first 2 shown]

/* apply mask, calc new C and issue writes */
v_cvt_f16_f32 v[vgprValuC+8], v[vgprValuC+8]       // convert C to fp16
v_cvt_f16_f32 v[vgprValuC+9], v[vgprValuC+9]       // convert C to fp16
v_pack_b32_f16 v8, v[vgprValuC+8], v[vgprValuC+9]  // Pack with neighbor
v_cvt_f16_f32 v[vgprValuC+10], v[vgprValuC+10]     // convert C to fp16
v_cvt_f16_f32 v[vgprValuC+11], v[vgprValuC+11]     // convert C to fp16
v_pack_b32_f16 v9, v[vgprValuC+10], v[vgprValuC+11] // Pack with neighbor
_buffer_store_b64 v[8:9], v6, s[sgprSrdD:sgprSrdD+3], 0, offen, offset:0,  sc0 sc1 // store D
v_cvt_f16_f32 v[vgprValuC+12], v[vgprValuC+12]     // convert C to fp16
v_cvt_f16_f32 v[vgprValuC+13], v[vgprValuC+13]     // convert C to fp16
v_pack_b32_f16 v12, v[vgprValuC+12], v[vgprValuC+13] // Pack with neighbor
v_cvt_f16_f32 v[vgprValuC+14], v[vgprValuC+14]     // convert C to fp16
v_cvt_f16_f32 v[vgprValuC+15], v[vgprValuC+15]     // convert C to fp16
v_pack_b32_f16 v13, v[vgprValuC+14], v[vgprValuC+15] // Pack with neighbor
_buffer_store_b64 v[12:13], v6, s[sgprSrdD:sgprSrdD+3], 0, offen, offset:256,  sc0 sc1 // store D
v_cvt_f16_f32 v[vgprValuC+16], v[vgprValuC+16]     // convert C to fp16
v_cvt_f16_f32 v[vgprValuC+17], v[vgprValuC+17]     // convert C to fp16
v_pack_b32_f16 v16, v[vgprValuC+16], v[vgprValuC+17] // Pack with neighbor
v_cvt_f16_f32 v[vgprValuC+18], v[vgprValuC+18]     // convert C to fp16
v_cvt_f16_f32 v[vgprValuC+19], v[vgprValuC+19]     // convert C to fp16
v_pack_b32_f16 v17, v[vgprValuC+18], v[vgprValuC+19] // Pack with neighbor
s_lshl_b32  s34, s[sgprStrideD1J], 1               // incToNextRow: Scale by BPE
s_add_u32  s[sgprSrdD+0], s[sgprSrdD+0], s34       // incToNextRow: gra SRD += inc(lower)
s_addc_u32  s[sgprSrdD+1], s[sgprSrdD+1], 0        // incToNextRow: gra SRD += inc(upper)
_buffer_store_b64 v[16:17], v6, s[sgprSrdD:sgprSrdD+3], 0, offen, offset:0,  sc0 sc1 // store D
v_cvt_f16_f32 v[vgprValuC+20], v[vgprValuC+20]     // convert C to fp16
v_cvt_f16_f32 v[vgprValuC+21], v[vgprValuC+21]     // convert C to fp16
v_pack_b32_f16 v20, v[vgprValuC+20], v[vgprValuC+21] // Pack with neighbor
v_cvt_f16_f32 v[vgprValuC+22], v[vgprValuC+22]     // convert C to fp16
v_cvt_f16_f32 v[vgprValuC+23], v[vgprValuC+23]     // convert C to fp16
v_pack_b32_f16 v21, v[vgprValuC+22], v[vgprValuC+23] // Pack with neighbor
_buffer_store_b64 v[20:21], v6, s[sgprSrdD:sgprSrdD+3], 0, offen, offset:256,  sc0 sc1 // store D
v_cvt_f16_f32 v[vgprValuC+24], v[vgprValuC+24]     // convert C to fp16
v_cvt_f16_f32 v[vgprValuC+25], v[vgprValuC+25]     // convert C to fp16
v_pack_b32_f16 v24, v[vgprValuC+24], v[vgprValuC+25] // Pack with neighbor
v_cvt_f16_f32 v[vgprValuC+26], v[vgprValuC+26]     // convert C to fp16
v_cvt_f16_f32 v[vgprValuC+27], v[vgprValuC+27]     // convert C to fp16
v_pack_b32_f16 v25, v[vgprValuC+26], v[vgprValuC+27] // Pack with neighbor
s_lshl_b32  s34, s[sgprStrideD1J], 1               // incToNextRow: Scale by BPE
s_add_u32  s[sgprSrdD+0], s[sgprSrdD+0], s34       // incToNextRow: gra SRD += inc(lower)
s_addc_u32  s[sgprSrdD+1], s[sgprSrdD+1], 0        // incToNextRow: gra SRD += inc(upper)
	;; [unrolled: 17-line block ×11, first 2 shown]
_buffer_store_b64 v[96:97], v6, s[sgprSrdD:sgprSrdD+3], 0, offen, offset:0,  sc0 sc1 // store D
v_cvt_f16_f32 v[vgprValuC+100], v[vgprValuC+100]   // convert C to fp16
v_cvt_f16_f32 v[vgprValuC+101], v[vgprValuC+101]   // convert C to fp16
v_pack_b32_f16 v100, v[vgprValuC+100], v[vgprValuC+101] // Pack with neighbor
v_cvt_f16_f32 v[vgprValuC+102], v[vgprValuC+102]   // convert C to fp16
v_cvt_f16_f32 v[vgprValuC+103], v[vgprValuC+103]   // convert C to fp16
v_pack_b32_f16 v101, v[vgprValuC+102], v[vgprValuC+103] // Pack with neighbor
_buffer_store_b64 v[100:101], v6, s[sgprSrdD:sgprSrdD+3], 0, offen, offset:256,  sc0 sc1 // store D
v_cvt_f16_f32 v[vgprValuC+104], v[vgprValuC+104]   // convert C to fp16
v_cvt_f16_f32 v[vgprValuC+105], v[vgprValuC+105]   // convert C to fp16
v_pack_b32_f16 v104, v[vgprValuC+104], v[vgprValuC+105] // Pack with neighbor
v_cvt_f16_f32 v[vgprValuC+106], v[vgprValuC+106]   // convert C to fp16
v_cvt_f16_f32 v[vgprValuC+107], v[vgprValuC+107]   // convert C to fp16
v_pack_b32_f16 v105, v[vgprValuC+106], v[vgprValuC+107] // Pack with neighbor
s_lshl_b32  s34, s[sgprStrideD1J], 1               // incToNextRow: Scale by BPE
s_add_u32  s[sgprSrdD+0], s[sgprSrdD+0], s34       // incToNextRow: gra SRD += inc(lower)
s_addc_u32  s[sgprSrdD+1], s[sgprSrdD+1], 0        // incToNextRow: gra SRD += inc(upper)
_buffer_store_b64 v[104:105], v6, s[sgprSrdD:sgprSrdD+3], 0, offen, offset:0,  sc0 sc1 // store D
v_cvt_f16_f32 v[vgprValuC+108], v[vgprValuC+108]   // convert C to fp16
v_cvt_f16_f32 v[vgprValuC+109], v[vgprValuC+109]   // convert C to fp16
v_pack_b32_f16 v108, v[vgprValuC+108], v[vgprValuC+109] // Pack with neighbor
v_cvt_f16_f32 v[vgprValuC+110], v[vgprValuC+110]   // convert C to fp16
v_cvt_f16_f32 v[vgprValuC+111], v[vgprValuC+111]   // convert C to fp16
v_pack_b32_f16 v109, v[vgprValuC+110], v[vgprValuC+111] // Pack with neighbor
_buffer_store_b64 v[108:109], v6, s[sgprSrdD:sgprSrdD+3], 0, offen, offset:256,  sc0 sc1 // store D
v_cvt_f16_f32 v[vgprValuC+112], v[vgprValuC+112]   // convert C to fp16
v_cvt_f16_f32 v[vgprValuC+113], v[vgprValuC+113]   // convert C to fp16
v_pack_b32_f16 v112, v[vgprValuC+112], v[vgprValuC+113] // Pack with neighbor
v_cvt_f16_f32 v[vgprValuC+114], v[vgprValuC+114]   // convert C to fp16
v_cvt_f16_f32 v[vgprValuC+115], v[vgprValuC+115]   // convert C to fp16
v_pack_b32_f16 v113, v[vgprValuC+114], v[vgprValuC+115] // Pack with neighbor
s_lshl_b32  s34, s[sgprStrideD1J], 1               // incToNextRow: Scale by BPE
s_add_u32  s[sgprSrdD+0], s[sgprSrdD+0], s34       // incToNextRow: gra SRD += inc(lower)
s_addc_u32  s[sgprSrdD+1], s[sgprSrdD+1], 0        // incToNextRow: gra SRD += inc(upper)
	;; [unrolled: 17-line block ×4, first 2 shown]
_buffer_store_b64 v[128:129], v6, s[sgprSrdD:sgprSrdD+3], 0, offen, offset:0,  sc0 sc1 // store D
v_cvt_f16_f32 v[vgprValuC+132], v[vgprValuC+132]   // convert C to fp16
v_cvt_f16_f32 v[vgprValuC+133], v[vgprValuC+133]   // convert C to fp16
v_pack_b32_f16 v132, v[vgprValuC+132], v[vgprValuC+133] // Pack with neighbor
v_cvt_f16_f32 v[vgprValuC+134], v[vgprValuC+134]   // convert C to fp16
v_cvt_f16_f32 v[vgprValuC+135], v[vgprValuC+135]   // convert C to fp16
v_pack_b32_f16 v133, v[vgprValuC+134], v[vgprValuC+135] // Pack with neighbor
_buffer_store_b64 v[132:133], v6, s[sgprSrdD:sgprSrdD+3], 0, offen, offset:256,  sc0 sc1 // store D
v_cvt_f16_f32 v[vgprValuC+136], v[vgprValuC+136]   // convert C to fp16
v_cvt_f16_f32 v[vgprValuC+137], v[vgprValuC+137]   // convert C to fp16
v_pack_b32_f16 v136, v[vgprValuC+136], v[vgprValuC+137] // Pack with neighbor
v_cvt_f16_f32 v[vgprValuC+138], v[vgprValuC+138]   // convert C to fp16
v_cvt_f16_f32 v[vgprValuC+139], v[vgprValuC+139]   // convert C to fp16
v_pack_b32_f16 v137, v[vgprValuC+138], v[vgprValuC+139] // Pack with neighbor
s_mul_i32 s34, s[sgprStrideD1J], 226               // scale StrideD *= numRows(113) * bpe
s_add_u32  s[sgprSrdD+0], s[sgprSrdD+0], s34       // incToNextRow: gra SRD += inc(lower)
s_addc_u32  s[sgprSrdD+1], s[sgprSrdD+1], 0        // incToNextRow: gra SRD += inc(upper)
_buffer_store_b64 v[136:137], v6, s[sgprSrdD:sgprSrdD+3], 0, offen, offset:0,  sc0 sc1 // store D
v_cvt_f16_f32 v[vgprValuC+140], v[vgprValuC+140]   // convert C to fp16
v_cvt_f16_f32 v[vgprValuC+141], v[vgprValuC+141]   // convert C to fp16
v_pack_b32_f16 v140, v[vgprValuC+140], v[vgprValuC+141] // Pack with neighbor
v_cvt_f16_f32 v[vgprValuC+142], v[vgprValuC+142]   // convert C to fp16
v_cvt_f16_f32 v[vgprValuC+143], v[vgprValuC+143]   // convert C to fp16
v_pack_b32_f16 v141, v[vgprValuC+142], v[vgprValuC+143] // Pack with neighbor
_buffer_store_b64 v[140:141], v6, s[sgprSrdD:sgprSrdD+3], 0, offen, offset:256,  sc0 sc1 // store D
v_cvt_f16_f32 v[vgprValuC+144], v[vgprValuC+144]   // convert C to fp16
v_cvt_f16_f32 v[vgprValuC+145], v[vgprValuC+145]   // convert C to fp16
v_pack_b32_f16 v144, v[vgprValuC+144], v[vgprValuC+145] // Pack with neighbor
v_cvt_f16_f32 v[vgprValuC+146], v[vgprValuC+146]   // convert C to fp16
v_cvt_f16_f32 v[vgprValuC+147], v[vgprValuC+147]   // convert C to fp16
v_pack_b32_f16 v145, v[vgprValuC+146], v[vgprValuC+147] // Pack with neighbor
s_lshl_b32  s34, s[sgprStrideD1J], 1               // incToNextRow: Scale by BPE
s_add_u32  s[sgprSrdD+0], s[sgprSrdD+0], s34       // incToNextRow: gra SRD += inc(lower)
s_addc_u32  s[sgprSrdD+1], s[sgprSrdD+1], 0        // incToNextRow: gra SRD += inc(upper)
_buffer_store_b64 v[144:145], v6, s[sgprSrdD:sgprSrdD+3], 0, offen, offset:0,  sc0 sc1 // store D
v_cvt_f16_f32 v[vgprValuC+148], v[vgprValuC+148]   // convert C to fp16
v_cvt_f16_f32 v[vgprValuC+149], v[vgprValuC+149]   // convert C to fp16
v_pack_b32_f16 v148, v[vgprValuC+148], v[vgprValuC+149] // Pack with neighbor
v_cvt_f16_f32 v[vgprValuC+150], v[vgprValuC+150]   // convert C to fp16
v_cvt_f16_f32 v[vgprValuC+151], v[vgprValuC+151]   // convert C to fp16
v_pack_b32_f16 v149, v[vgprValuC+150], v[vgprValuC+151] // Pack with neighbor
_buffer_store_b64 v[148:149], v6, s[sgprSrdD:sgprSrdD+3], 0, offen, offset:256,  sc0 sc1 // store D
v_cvt_f16_f32 v[vgprValuC+152], v[vgprValuC+152]   // convert C to fp16
v_cvt_f16_f32 v[vgprValuC+153], v[vgprValuC+153]   // convert C to fp16
v_pack_b32_f16 v152, v[vgprValuC+152], v[vgprValuC+153] // Pack with neighbor
v_cvt_f16_f32 v[vgprValuC+154], v[vgprValuC+154]   // convert C to fp16
v_cvt_f16_f32 v[vgprValuC+155], v[vgprValuC+155]   // convert C to fp16
v_pack_b32_f16 v153, v[vgprValuC+154], v[vgprValuC+155] // Pack with neighbor
s_lshl_b32  s34, s[sgprStrideD1J], 1               // incToNextRow: Scale by BPE
	;; [unrolled: 17-line block ×13, first 2 shown]
s_add_u32  s[sgprSrdD+0], s[sgprSrdD+0], s34       // incToNextRow: gra SRD += inc(lower)
s_addc_u32  s[sgprSrdD+1], s[sgprSrdD+1], 0        // incToNextRow: gra SRD += inc(upper)
_buffer_store_b64 v[244:245], v6, s[sgprSrdD:sgprSrdD+3], 0, offen, offset:0,  sc0 sc1 // store D
v_cvt_f16_f32 v[vgprValuC+248], v[vgprValuC+248]   // convert C to fp16
v_cvt_f16_f32 v[vgprValuC+249], v[vgprValuC+249]   // convert C to fp16
v_pack_b32_f16 v248, v[vgprValuC+248], v[vgprValuC+249] // Pack with neighbor
v_cvt_f16_f32 v[vgprValuC+250], v[vgprValuC+250]   // convert C to fp16
v_cvt_f16_f32 v[vgprValuC+251], v[vgprValuC+251]   // convert C to fp16
v_pack_b32_f16 v249, v[vgprValuC+250], v[vgprValuC+251] // Pack with neighbor
_buffer_store_b64 v[248:249], v6, s[sgprSrdD:sgprSrdD+3], 0, offen, offset:256,  sc0 sc1 // store D
s_nop 0                                            // 1 wait state required when next inst writes vgprs held by previous dwordx4 store inst
/* optSingleColVgpr=1 optSharedColVgpr=0 optSGPRUsage=BufferLoad_Mask optSrdIncForRow=1 */

/******************************************/
/* Global Write Alpha Batch #1 (d1,d0,vc1,vc0) = */
/*    (1,0,14,0:vw4); (1,1,14,0:vw4); (1,0,15,0:vw4); (1,1,15,0:vw4) */
/******************************************/

/* calc coords, apply mask, and issue loads (if necessary) */
/* (d1,vc1,d0,vc0)=(1,14,0,0) */
/* (d1,vc1,d0,vc0)=(1,14,1,0) */
	;; [unrolled: 1-line block ×4, first 2 shown]
v_accvgpr_read_b32 v[vgprValuC+8], acc195 // copy acc to vreg[240]
v_accvgpr_read_b32 v[vgprValuC+9], acc199 // copy acc to vreg[241]
v_accvgpr_read_b32 v[vgprValuC+10], acc203 // copy acc to vreg[242]
v_accvgpr_read_b32 v[vgprValuC+11], acc207 // copy acc to vreg[243]
v_accvgpr_read_b32 v[vgprValuC+12], acc211 // copy acc to vreg[244]
v_accvgpr_read_b32 v[vgprValuC+13], acc215 // copy acc to vreg[245]
v_accvgpr_read_b32 v[vgprValuC+14], acc219 // copy acc to vreg[246]
v_accvgpr_read_b32 v[vgprValuC+15], acc223 // copy acc to vreg[247]
v_accvgpr_read_b32 v[vgprValuC+16], acc227 // copy acc to vreg[248]
v_accvgpr_read_b32 v[vgprValuC+17], acc231 // copy acc to vreg[249]
v_accvgpr_read_b32 v[vgprValuC+18], acc235 // copy acc to vreg[250]
v_accvgpr_read_b32 v[vgprValuC+19], acc239 // copy acc to vreg[251]
v_accvgpr_read_b32 v[vgprValuC+20], acc243 // copy acc to vreg[252]
v_accvgpr_read_b32 v[vgprValuC+21], acc247 // copy acc to vreg[253]
v_accvgpr_read_b32 v[vgprValuC+22], acc251 // copy acc to vreg[254]
v_accvgpr_read_b32 v[vgprValuC+23], acc255 // copy acc to vreg[255]
s_nop 1                                            // 2 wait states required before reading vgpr

/* rC *= alpha batchElements=[(1, 0, 14, 0), (1, 1, 14, 0), (1, 0, 15, 0), (1, 1, 15, 0)] */
v_mul_f32 v[vgprValuC+8], s[sgprAlpha], v[vgprValuC+8] // *= alpha
v_mul_f32 v[vgprValuC+9], s[sgprAlpha], v[vgprValuC+9] // *= alpha
	;; [unrolled: 1-line block ×16, first 2 shown]

/* apply mask, calc new C and issue writes */
v_cvt_f16_f32 v[vgprValuC+8], v[vgprValuC+8]       // convert C to fp16
v_cvt_f16_f32 v[vgprValuC+9], v[vgprValuC+9]       // convert C to fp16
v_pack_b32_f16 v8, v[vgprValuC+8], v[vgprValuC+9]  // Pack with neighbor
v_cvt_f16_f32 v[vgprValuC+10], v[vgprValuC+10]     // convert C to fp16
v_cvt_f16_f32 v[vgprValuC+11], v[vgprValuC+11]     // convert C to fp16
v_pack_b32_f16 v9, v[vgprValuC+10], v[vgprValuC+11] // Pack with neighbor
s_lshl_b32  s34, s[sgprStrideD1J], 1               // incToNextRow: Scale by BPE
s_add_u32  s[sgprSrdD+0], s[sgprSrdD+0], s34       // incToNextRow: gra SRD += inc(lower)
s_addc_u32  s[sgprSrdD+1], s[sgprSrdD+1], 0        // incToNextRow: gra SRD += inc(upper)
_buffer_store_b64 v[8:9], v6, s[sgprSrdD:sgprSrdD+3], 0, offen, offset:0,  sc0 sc1 // store D
v_cvt_f16_f32 v[vgprValuC+12], v[vgprValuC+12]     // convert C to fp16
v_cvt_f16_f32 v[vgprValuC+13], v[vgprValuC+13]     // convert C to fp16
v_pack_b32_f16 v12, v[vgprValuC+12], v[vgprValuC+13] // Pack with neighbor
v_cvt_f16_f32 v[vgprValuC+14], v[vgprValuC+14]     // convert C to fp16
v_cvt_f16_f32 v[vgprValuC+15], v[vgprValuC+15]     // convert C to fp16
v_pack_b32_f16 v13, v[vgprValuC+14], v[vgprValuC+15] // Pack with neighbor
_buffer_store_b64 v[12:13], v6, s[sgprSrdD:sgprSrdD+3], 0, offen, offset:256,  sc0 sc1 // store D
v_cvt_f16_f32 v[vgprValuC+16], v[vgprValuC+16]     // convert C to fp16
v_cvt_f16_f32 v[vgprValuC+17], v[vgprValuC+17]     // convert C to fp16
v_pack_b32_f16 v16, v[vgprValuC+16], v[vgprValuC+17] // Pack with neighbor
v_cvt_f16_f32 v[vgprValuC+18], v[vgprValuC+18]     // convert C to fp16
v_cvt_f16_f32 v[vgprValuC+19], v[vgprValuC+19]     // convert C to fp16
v_pack_b32_f16 v17, v[vgprValuC+18], v[vgprValuC+19] // Pack with neighbor
s_lshl_b32  s34, s[sgprStrideD1J], 1               // incToNextRow: Scale by BPE
s_add_u32  s[sgprSrdD+0], s[sgprSrdD+0], s34       // incToNextRow: gra SRD += inc(lower)
s_addc_u32  s[sgprSrdD+1], s[sgprSrdD+1], 0        // incToNextRow: gra SRD += inc(upper)
_buffer_store_b64 v[16:17], v6, s[sgprSrdD:sgprSrdD+3], 0, offen, offset:0,  sc0 sc1 // store D
v_cvt_f16_f32 v[vgprValuC+20], v[vgprValuC+20]     // convert C to fp16
v_cvt_f16_f32 v[vgprValuC+21], v[vgprValuC+21]     // convert C to fp16
v_pack_b32_f16 v20, v[vgprValuC+20], v[vgprValuC+21] // Pack with neighbor
v_cvt_f16_f32 v[vgprValuC+22], v[vgprValuC+22]     // convert C to fp16
v_cvt_f16_f32 v[vgprValuC+23], v[vgprValuC+23]     // convert C to fp16
v_pack_b32_f16 v21, v[vgprValuC+22], v[vgprValuC+23] // Pack with neighbor
_buffer_store_b64 v[20:21], v6, s[sgprSrdD:sgprSrdD+3], 0, offen, offset:256,  sc0 sc1 // store D
s_nop 0                                            // 1 wait state required when next inst writes vgprs held by previous dwordx4 store inst
s_branch label_GW_End_48                           // jump to end
GW_B0_E1_40:

/* edge=1, allocate 6 sgpr. perBatchTmpS=4 perBatchMaskS=2 perElementMaskS=0 elementsPerBatch=48 */
/* optSingleColVgpr=0 optSharedColVgpr=0 optSGPRUsage=BufferLoad_Edge_Mask optSrdIncForRow=0 */

/******************************************/
/* Global Write Alpha Edge Batch #0 (d1,d0,vc1,vc0) = */
/*    (0,0,0,0:vw4); (0,1,0,0:vw4); (0,0,1,0:vw4); (0,1,1,0:vw4); (0,0,2,0:vw4); (0,1,2,0:vw4); (0,0,3,0:vw4); (0,1,3,0:vw4); (0,0,4,0:vw4); (0,1,4,0:vw4); (0,0,5,0:vw4); (0,1,5,0:vw4); (0,0,6,0:vw4); (0,1,6,0:vw4); (0,0,7,0:vw4); (0,1,7,0:vw4); (0,0,8,0:vw4); (0,1,8,0:vw4); (0,0,9,0:vw4); (0,1,9,0:vw4); (0,0,10,0:vw4); (0,1,10,0:vw4); (0,0,11,0:vw4); (0,1,11,0:vw4); (0,0,12,0:vw4); (0,1,12,0:vw4); (0,0,13,0:vw4); (0,1,13,0:vw4); (0,0,14,0:vw4); (0,1,14,0:vw4); (0,0,15,0:vw4); (0,1,15,0:vw4); (1,0,0,0:vw4); (1,1,0,0:vw4); (1,0,1,0:vw4); (1,1,1,0:vw4); (1,0,2,0:vw4); (1,1,2,0:vw4); (1,0,3,0:vw4); (1,1,3,0:vw4); (1,0,4,0:vw4); (1,1,4,0:vw4); (1,0,5,0:vw4); (1,1,5,0:vw4); (1,0,6,0:vw4); (1,1,6,0:vw4); (1,0,7,0:vw4); (1,1,7,0:vw4) */
/******************************************/

/* calc coords, apply mask, and issue loads (if necessary) */
/* (d1,vc1,d0,vc0)=(0,0,0,0) */
v_cmp_lt_u32 s[52:53], v0, s[sgprSizeI]            // coord0 < size0
v_cmp_lt_u32 s[56:57], v1, s[sgprSizeJ]            // coord1 < size1
s_and_b64 s[56:57], s[52:53], s[56:57]             // in0 && in1
_v_add_lshl_u32 v6, v3, v0, 0x1                    // scaleToBpe: accumulate d0 lower and *= bpe into Cin addr
v_cndmask_b32 v6, -1, v6, s[56:57]                 // LDD clip if OOB. offset
/* (d1,vc1,d0,vc0)=(0,0,1,0) */
s_mov_b32 s52, 128                                 // coordOffset0 d0=1 vc0=0
_v_add_co_u32 v4, vcc, v0, s52                     // coord0.2: coord0 += d0*sg0*VW + vc0
v_cmp_lt_u32 s[52:53], v4, s[sgprSizeI]            // coord0 < size0
v_cmp_lt_u32 s[56:57], v1, s[sgprSizeJ]            // coord1 < size1
s_and_b64 s[56:57], s[52:53], s[56:57]             // in0 && in1
_v_add_lshl_u32 v7, v3, v4, 0x1                    // scaleToBpe: accumulate d0 lower and *= bpe into Cin addr
v_cndmask_b32 v7, -1, v7, s[56:57]                 // LDD clip if OOB. offset
/* (d1,vc1,d0,vc0)=(0,1,0,0) */
_v_add_co_u32 v1, vcc, v1, 1                       // coord1.1: coord1Vgpr += d1*sg1*VW + vc1

/* Fix for UseInitialStridesCD, emitAddressSetupCode */
_v_add_u32 v2, v2, s[sgprStrideC1J]                // ROWINC- Move cinRowPtr to next row
_v_add_u32 v3, v3, s[sgprStrideD1J]                // Move coutRowPtr to next row
v_cmp_lt_u32 s[52:53], v0, s[sgprSizeI]            // coord0 < size0
v_cmp_lt_u32 s[56:57], v1, s[sgprSizeJ]            // coord1 < size1
s_and_b64 s[56:57], s[52:53], s[56:57]             // in0 && in1
_v_add_lshl_u32 v16, v3, v0, 0x1                   // scaleToBpe: accumulate d0 lower and *= bpe into Cin addr
v_cndmask_b32 v16, -1, v16, s[56:57]               // LDD clip if OOB. offset
/* (d1,vc1,d0,vc0)=(0,1,1,0) */
s_mov_b32 s52, 128                                 // coordOffset0 d0=1 vc0=0
_v_add_co_u32 v4, vcc, v0, s52                     // coord0.2: coord0 += d0*sg0*VW + vc0
v_cmp_lt_u32 s[52:53], v4, s[sgprSizeI]            // coord0 < size0
v_cmp_lt_u32 s[56:57], v1, s[sgprSizeJ]            // coord1 < size1
s_and_b64 s[56:57], s[52:53], s[56:57]             // in0 && in1
_v_add_lshl_u32 v17, v3, v4, 0x1                   // scaleToBpe: accumulate d0 lower and *= bpe into Cin addr
v_cndmask_b32 v17, -1, v17, s[56:57]               // LDD clip if OOB. offset
/* (d1,vc1,d0,vc0)=(0,2,0,0) */
_v_add_co_u32 v1, vcc, v1, 1                       // coord1.1: coord1Vgpr += d1*sg1*VW + vc1

/* Fix for UseInitialStridesCD, emitAddressSetupCode */
_v_add_u32 v2, v2, s[sgprStrideC1J]                // ROWINC- Move cinRowPtr to next row
_v_add_u32 v3, v3, s[sgprStrideD1J]                // Move coutRowPtr to next row
v_cmp_lt_u32 s[52:53], v0, s[sgprSizeI]            // coord0 < size0
v_cmp_lt_u32 s[56:57], v1, s[sgprSizeJ]            // coord1 < size1
s_and_b64 s[56:57], s[52:53], s[56:57]             // in0 && in1
_v_add_lshl_u32 v18, v3, v0, 0x1                   // scaleToBpe: accumulate d0 lower and *= bpe into Cin addr
v_cndmask_b32 v18, -1, v18, s[56:57]               // LDD clip if OOB. offset
/* (d1,vc1,d0,vc0)=(0,2,1,0) */
s_mov_b32 s52, 128                                 // coordOffset0 d0=1 vc0=0
_v_add_co_u32 v4, vcc, v0, s52                     // coord0.2: coord0 += d0*sg0*VW + vc0
v_cmp_lt_u32 s[52:53], v4, s[sgprSizeI]            // coord0 < size0
v_cmp_lt_u32 s[56:57], v1, s[sgprSizeJ]            // coord1 < size1
s_and_b64 s[56:57], s[52:53], s[56:57]             // in0 && in1
_v_add_lshl_u32 v19, v3, v4, 0x1                   // scaleToBpe: accumulate d0 lower and *= bpe into Cin addr
v_cndmask_b32 v19, -1, v19, s[56:57]               // LDD clip if OOB. offset
	;; [unrolled: 19-line block ×10, first 2 shown]
/* (d1,vc1,d0,vc0)=(0,11,0,0) */
_v_add_co_u32 v1, vcc, v1, 1                       // coord1.1: coord1Vgpr += d1*sg1*VW + vc1

/* Fix for UseInitialStridesCD, emitAddressSetupCode */
_v_add_u32 v2, v2, s[sgprStrideC1J]                // ROWINC- Move cinRowPtr to next row
_v_add_u32 v3, v3, s[sgprStrideD1J]                // Move coutRowPtr to next row
v_cmp_lt_u32 s[52:53], v0, s[sgprSizeI]            // coord0 < size0
v_cmp_lt_u32 s[56:57], v1, s[sgprSizeJ]            // coord1 < size1
s_and_b64 s[56:57], s[52:53], s[56:57]             // in0 && in1
_v_add_lshl_u32 v116, v3, v0, 0x1                  // scaleToBpe: accumulate d0 lower and *= bpe into Cin addr
v_cndmask_b32 v116, -1, v116, s[56:57]             // LDD clip if OOB. offset
/* (d1,vc1,d0,vc0)=(0,11,1,0) */
s_mov_b32 s52, 128                                 // coordOffset0 d0=1 vc0=0
_v_add_co_u32 v4, vcc, v0, s52                     // coord0.2: coord0 += d0*sg0*VW + vc0
v_cmp_lt_u32 s[52:53], v4, s[sgprSizeI]            // coord0 < size0
v_cmp_lt_u32 s[56:57], v1, s[sgprSizeJ]            // coord1 < size1
s_and_b64 s[56:57], s[52:53], s[56:57]             // in0 && in1
_v_add_lshl_u32 v117, v3, v4, 0x1                  // scaleToBpe: accumulate d0 lower and *= bpe into Cin addr
v_cndmask_b32 v117, -1, v117, s[56:57]             // LDD clip if OOB. offset
/* (d1,vc1,d0,vc0)=(0,12,0,0) */
_v_add_co_u32 v1, vcc, v1, 1                       // coord1.1: coord1Vgpr += d1*sg1*VW + vc1

/* Fix for UseInitialStridesCD, emitAddressSetupCode */
_v_add_u32 v2, v2, s[sgprStrideC1J]                // ROWINC- Move cinRowPtr to next row
_v_add_u32 v3, v3, s[sgprStrideD1J]                // Move coutRowPtr to next row
v_cmp_lt_u32 s[52:53], v0, s[sgprSizeI]            // coord0 < size0
v_cmp_lt_u32 s[56:57], v1, s[sgprSizeJ]            // coord1 < size1
s_and_b64 s[56:57], s[52:53], s[56:57]             // in0 && in1
_v_add_lshl_u32 v118, v3, v0, 0x1                  // scaleToBpe: accumulate d0 lower and *= bpe into Cin addr
v_cndmask_b32 v118, -1, v118, s[56:57]             // LDD clip if OOB. offset
/* (d1,vc1,d0,vc0)=(0,12,1,0) */
s_mov_b32 s52, 128                                 // coordOffset0 d0=1 vc0=0
_v_add_co_u32 v4, vcc, v0, s52                     // coord0.2: coord0 += d0*sg0*VW + vc0
v_cmp_lt_u32 s[52:53], v4, s[sgprSizeI]            // coord0 < size0
v_cmp_lt_u32 s[56:57], v1, s[sgprSizeJ]            // coord1 < size1
s_and_b64 s[56:57], s[52:53], s[56:57]             // in0 && in1
_v_add_lshl_u32 v119, v3, v4, 0x1                  // scaleToBpe: accumulate d0 lower and *= bpe into Cin addr
v_cndmask_b32 v119, -1, v119, s[56:57]             // LDD clip if OOB. offset
	;; [unrolled: 19-line block ×5, first 2 shown]
/* (d1,vc1,d0,vc0)=(1,0,0,0) */
s_mov_b32 s52, 113                                 // rowInc d1=0 vc1=0
_v_add_co_u32 v1, vcc, v1, s52                     // coord1.2: coord1 += d1*sg1*VW + vc1

/* Fix for UseInitialStridesCD, emitAddressSetupCode */
s_mul_i32 s52, s[sgprStrideC1J], 113               // scale stride
_v_add_u32 v2, v2, s52                             // ROWINC- Move cinRowPtr to next row
s_mul_i32 s52, s[sgprStrideD1J], 113               // scale stride
_v_add_u32 v3, v3, s52                             // Move coutRowPtr to next row
v_cmp_lt_u32 s[52:53], v0, s[sgprSizeI]            // coord0 < size0
v_cmp_lt_u32 s[56:57], v1, s[sgprSizeJ]            // coord1 < size1
s_and_b64 s[56:57], s[52:53], s[56:57]             // in0 && in1
_v_add_lshl_u32 v158, v3, v0, 0x1                  // scaleToBpe: accumulate d0 lower and *= bpe into Cin addr
v_cndmask_b32 v158, -1, v158, s[56:57]             // LDD clip if OOB. offset
/* (d1,vc1,d0,vc0)=(1,0,1,0) */
s_mov_b32 s52, 128                                 // coordOffset0 d0=1 vc0=0
_v_add_co_u32 v4, vcc, v0, s52                     // coord0.2: coord0 += d0*sg0*VW + vc0
v_cmp_lt_u32 s[52:53], v4, s[sgprSizeI]            // coord0 < size0
v_cmp_lt_u32 s[56:57], v1, s[sgprSizeJ]            // coord1 < size1
s_and_b64 s[56:57], s[52:53], s[56:57]             // in0 && in1
_v_add_lshl_u32 v159, v3, v4, 0x1                  // scaleToBpe: accumulate d0 lower and *= bpe into Cin addr
v_cndmask_b32 v159, -1, v159, s[56:57]             // LDD clip if OOB. offset
/* (d1,vc1,d0,vc0)=(1,1,0,0) */
_v_add_co_u32 v1, vcc, v1, 1                       // coord1.1: coord1Vgpr += d1*sg1*VW + vc1

/* Fix for UseInitialStridesCD, emitAddressSetupCode */
_v_add_u32 v2, v2, s[sgprStrideC1J]                // ROWINC- Move cinRowPtr to next row
_v_add_u32 v3, v3, s[sgprStrideD1J]                // Move coutRowPtr to next row
v_cmp_lt_u32 s[52:53], v0, s[sgprSizeI]            // coord0 < size0
v_cmp_lt_u32 s[56:57], v1, s[sgprSizeJ]            // coord1 < size1
s_and_b64 s[56:57], s[52:53], s[56:57]             // in0 && in1
_v_add_lshl_u32 v176, v3, v0, 0x1                  // scaleToBpe: accumulate d0 lower and *= bpe into Cin addr
v_cndmask_b32 v176, -1, v176, s[56:57]             // LDD clip if OOB. offset
/* (d1,vc1,d0,vc0)=(1,1,1,0) */
s_mov_b32 s52, 128                                 // coordOffset0 d0=1 vc0=0
_v_add_co_u32 v4, vcc, v0, s52                     // coord0.2: coord0 += d0*sg0*VW + vc0
v_cmp_lt_u32 s[52:53], v4, s[sgprSizeI]            // coord0 < size0
v_cmp_lt_u32 s[56:57], v1, s[sgprSizeJ]            // coord1 < size1
s_and_b64 s[56:57], s[52:53], s[56:57]             // in0 && in1
_v_add_lshl_u32 v177, v3, v4, 0x1                  // scaleToBpe: accumulate d0 lower and *= bpe into Cin addr
v_cndmask_b32 v177, -1, v177, s[56:57]             // LDD clip if OOB. offset
/* (d1,vc1,d0,vc0)=(1,2,0,0) */
_v_add_co_u32 v1, vcc, v1, 1                       // coord1.1: coord1Vgpr += d1*sg1*VW + vc1

/* Fix for UseInitialStridesCD, emitAddressSetupCode */
_v_add_u32 v2, v2, s[sgprStrideC1J]                // ROWINC- Move cinRowPtr to next row
_v_add_u32 v3, v3, s[sgprStrideD1J]                // Move coutRowPtr to next row
v_cmp_lt_u32 s[52:53], v0, s[sgprSizeI]            // coord0 < size0
v_cmp_lt_u32 s[56:57], v1, s[sgprSizeJ]            // coord1 < size1
s_and_b64 s[56:57], s[52:53], s[56:57]             // in0 && in1
_v_add_lshl_u32 v178, v3, v0, 0x1                  // scaleToBpe: accumulate d0 lower and *= bpe into Cin addr
v_cndmask_b32 v178, -1, v178, s[56:57]             // LDD clip if OOB. offset
/* (d1,vc1,d0,vc0)=(1,2,1,0) */
s_mov_b32 s52, 128                                 // coordOffset0 d0=1 vc0=0
_v_add_co_u32 v4, vcc, v0, s52                     // coord0.2: coord0 += d0*sg0*VW + vc0
v_cmp_lt_u32 s[52:53], v4, s[sgprSizeI]            // coord0 < size0
v_cmp_lt_u32 s[56:57], v1, s[sgprSizeJ]            // coord1 < size1
s_and_b64 s[56:57], s[52:53], s[56:57]             // in0 && in1
_v_add_lshl_u32 v179, v3, v4, 0x1                  // scaleToBpe: accumulate d0 lower and *= bpe into Cin addr
v_cndmask_b32 v179, -1, v179, s[56:57]             // LDD clip if OOB. offset
/* (d1,vc1,d0,vc0)=(1,3,0,0) */
_v_add_co_u32 v1, vcc, v1, 1                       // coord1.1: coord1Vgpr += d1*sg1*VW + vc1

/* Fix for UseInitialStridesCD, emitAddressSetupCode */
_v_add_u32 v2, v2, s[sgprStrideC1J]                // ROWINC- Move cinRowPtr to next row
_v_add_u32 v3, v3, s[sgprStrideD1J]                // Move coutRowPtr to next row
v_cmp_lt_u32 s[52:53], v0, s[sgprSizeI]            // coord0 < size0
v_cmp_lt_u32 s[56:57], v1, s[sgprSizeJ]            // coord1 < size1
s_and_b64 s[56:57], s[52:53], s[56:57]             // in0 && in1
_v_add_lshl_u32 v196, v3, v0, 0x1                  // scaleToBpe: accumulate d0 lower and *= bpe into Cin addr
v_cndmask_b32 v196, -1, v196, s[56:57]             // LDD clip if OOB. offset
/* (d1,vc1,d0,vc0)=(1,3,1,0) */
s_mov_b32 s52, 128                                 // coordOffset0 d0=1 vc0=0
_v_add_co_u32 v4, vcc, v0, s52                     // coord0.2: coord0 += d0*sg0*VW + vc0
v_cmp_lt_u32 s[52:53], v4, s[sgprSizeI]            // coord0 < size0
v_cmp_lt_u32 s[56:57], v1, s[sgprSizeJ]            // coord1 < size1
s_and_b64 s[56:57], s[52:53], s[56:57]             // in0 && in1
_v_add_lshl_u32 v197, v3, v4, 0x1                  // scaleToBpe: accumulate d0 lower and *= bpe into Cin addr
v_cndmask_b32 v197, -1, v197, s[56:57]             // LDD clip if OOB. offset
/* (d1,vc1,d0,vc0)=(1,4,0,0) */
_v_add_co_u32 v1, vcc, v1, 1                       // coord1.1: coord1Vgpr += d1*sg1*VW + vc1

/* Fix for UseInitialStridesCD, emitAddressSetupCode */
_v_add_u32 v2, v2, s[sgprStrideC1J]                // ROWINC- Move cinRowPtr to next row
_v_add_u32 v3, v3, s[sgprStrideD1J]                // Move coutRowPtr to next row
v_cmp_lt_u32 s[52:53], v0, s[sgprSizeI]            // coord0 < size0
v_cmp_lt_u32 s[56:57], v1, s[sgprSizeJ]            // coord1 < size1
s_and_b64 s[56:57], s[52:53], s[56:57]             // in0 && in1
_v_add_lshl_u32 v198, v3, v0, 0x1                  // scaleToBpe: accumulate d0 lower and *= bpe into Cin addr
v_cndmask_b32 v198, -1, v198, s[56:57]             // LDD clip if OOB. offset
/* (d1,vc1,d0,vc0)=(1,4,1,0) */
s_mov_b32 s52, 128                                 // coordOffset0 d0=1 vc0=0
_v_add_co_u32 v4, vcc, v0, s52                     // coord0.2: coord0 += d0*sg0*VW + vc0
v_cmp_lt_u32 s[52:53], v4, s[sgprSizeI]            // coord0 < size0
v_cmp_lt_u32 s[56:57], v1, s[sgprSizeJ]            // coord1 < size1
s_and_b64 s[56:57], s[52:53], s[56:57]             // in0 && in1
_v_add_lshl_u32 v199, v3, v4, 0x1                  // scaleToBpe: accumulate d0 lower and *= bpe into Cin addr
v_cndmask_b32 v199, -1, v199, s[56:57]             // LDD clip if OOB. offset
/* (d1,vc1,d0,vc0)=(1,5,0,0) */
_v_add_co_u32 v1, vcc, v1, 1                       // coord1.1: coord1Vgpr += d1*sg1*VW + vc1

/* Fix for UseInitialStridesCD, emitAddressSetupCode */
_v_add_u32 v2, v2, s[sgprStrideC1J]                // ROWINC- Move cinRowPtr to next row
_v_add_u32 v3, v3, s[sgprStrideD1J]                // Move coutRowPtr to next row
v_cmp_lt_u32 s[52:53], v0, s[sgprSizeI]            // coord0 < size0
v_cmp_lt_u32 s[56:57], v1, s[sgprSizeJ]            // coord1 < size1
s_and_b64 s[56:57], s[52:53], s[56:57]             // in0 && in1
_v_add_lshl_u32 v216, v3, v0, 0x1                  // scaleToBpe: accumulate d0 lower and *= bpe into Cin addr
v_cndmask_b32 v216, -1, v216, s[56:57]             // LDD clip if OOB. offset
/* (d1,vc1,d0,vc0)=(1,5,1,0) */
s_mov_b32 s52, 128                                 // coordOffset0 d0=1 vc0=0
_v_add_co_u32 v4, vcc, v0, s52                     // coord0.2: coord0 += d0*sg0*VW + vc0
v_cmp_lt_u32 s[52:53], v4, s[sgprSizeI]            // coord0 < size0
v_cmp_lt_u32 s[56:57], v1, s[sgprSizeJ]            // coord1 < size1
s_and_b64 s[56:57], s[52:53], s[56:57]             // in0 && in1
_v_add_lshl_u32 v217, v3, v4, 0x1                  // scaleToBpe: accumulate d0 lower and *= bpe into Cin addr
v_cndmask_b32 v217, -1, v217, s[56:57]             // LDD clip if OOB. offset
/* (d1,vc1,d0,vc0)=(1,6,0,0) */
_v_add_co_u32 v1, vcc, v1, 1                       // coord1.1: coord1Vgpr += d1*sg1*VW + vc1

/* Fix for UseInitialStridesCD, emitAddressSetupCode */
_v_add_u32 v2, v2, s[sgprStrideC1J]                // ROWINC- Move cinRowPtr to next row
_v_add_u32 v3, v3, s[sgprStrideD1J]                // Move coutRowPtr to next row
v_cmp_lt_u32 s[52:53], v0, s[sgprSizeI]            // coord0 < size0
v_cmp_lt_u32 s[56:57], v1, s[sgprSizeJ]            // coord1 < size1
s_and_b64 s[56:57], s[52:53], s[56:57]             // in0 && in1
_v_add_lshl_u32 v218, v3, v0, 0x1                  // scaleToBpe: accumulate d0 lower and *= bpe into Cin addr
v_cndmask_b32 v218, -1, v218, s[56:57]             // LDD clip if OOB. offset
/* (d1,vc1,d0,vc0)=(1,6,1,0) */
s_mov_b32 s52, 128                                 // coordOffset0 d0=1 vc0=0
_v_add_co_u32 v4, vcc, v0, s52                     // coord0.2: coord0 += d0*sg0*VW + vc0
v_cmp_lt_u32 s[52:53], v4, s[sgprSizeI]            // coord0 < size0
v_cmp_lt_u32 s[56:57], v1, s[sgprSizeJ]            // coord1 < size1
s_and_b64 s[56:57], s[52:53], s[56:57]             // in0 && in1
_v_add_lshl_u32 v219, v3, v4, 0x1                  // scaleToBpe: accumulate d0 lower and *= bpe into Cin addr
v_cndmask_b32 v219, -1, v219, s[56:57]             // LDD clip if OOB. offset
/* (d1,vc1,d0,vc0)=(1,7,0,0) */
_v_add_co_u32 v1, vcc, v1, 1                       // coord1.1: coord1Vgpr += d1*sg1*VW + vc1

/* Fix for UseInitialStridesCD, emitAddressSetupCode */
_v_add_u32 v2, v2, s[sgprStrideC1J]                // ROWINC- Move cinRowPtr to next row
_v_add_u32 v3, v3, s[sgprStrideD1J]                // Move coutRowPtr to next row
v_cmp_lt_u32 s[52:53], v0, s[sgprSizeI]            // coord0 < size0
v_cmp_lt_u32 s[56:57], v1, s[sgprSizeJ]            // coord1 < size1
s_and_b64 s[56:57], s[52:53], s[56:57]             // in0 && in1
_v_add_lshl_u32 v231, v3, v0, 0x1                  // scaleToBpe: accumulate d0 lower and *= bpe into Cin addr
v_cndmask_b32 v231, -1, v231, s[56:57]             // LDD clip if OOB. offset
/* (d1,vc1,d0,vc0)=(1,7,1,0) */
s_mov_b32 s52, 128                                 // coordOffset0 d0=1 vc0=0
_v_add_co_u32 v4, vcc, v0, s52                     // coord0.2: coord0 += d0*sg0*VW + vc0
v_cmp_lt_u32 s[52:53], v4, s[sgprSizeI]            // coord0 < size0
v_cmp_lt_u32 s[56:57], v1, s[sgprSizeJ]            // coord1 < size1
s_and_b64 s[56:57], s[52:53], s[56:57]             // in0 && in1
_v_add_lshl_u32 v244, v3, v4, 0x1                  // scaleToBpe: accumulate d0 lower and *= bpe into Cin addr
v_cndmask_b32 v244, -1, v244, s[56:57]             // LDD clip if OOB. offset
v_accvgpr_read_b32 v[vgprValuC+8], acc0 // copy acc to vreg[0]
v_accvgpr_read_b32 v[vgprValuC+9], acc4 // copy acc to vreg[1]
v_accvgpr_read_b32 v[vgprValuC+10], acc8 // copy acc to vreg[2]
v_accvgpr_read_b32 v[vgprValuC+11], acc12 // copy acc to vreg[3]
v_accvgpr_read_b32 v[vgprValuC+12], acc16 // copy acc to vreg[4]
v_accvgpr_read_b32 v[vgprValuC+13], acc20 // copy acc to vreg[5]
v_accvgpr_read_b32 v[vgprValuC+14], acc24 // copy acc to vreg[6]
v_accvgpr_read_b32 v[vgprValuC+15], acc28 // copy acc to vreg[7]
v_accvgpr_read_b32 v[vgprValuC+20], acc32 // copy acc to vreg[8]
v_accvgpr_read_b32 v[vgprValuC+21], acc36 // copy acc to vreg[9]
v_accvgpr_read_b32 v[vgprValuC+22], acc40 // copy acc to vreg[10]
v_accvgpr_read_b32 v[vgprValuC+23], acc44 // copy acc to vreg[11]
v_accvgpr_read_b32 v[vgprValuC+24], acc48 // copy acc to vreg[12]
v_accvgpr_read_b32 v[vgprValuC+25], acc52 // copy acc to vreg[13]
v_accvgpr_read_b32 v[vgprValuC+26], acc56 // copy acc to vreg[14]
v_accvgpr_read_b32 v[vgprValuC+27], acc60 // copy acc to vreg[15]
v_accvgpr_read_b32 v[vgprValuC+28], acc64 // copy acc to vreg[16]
v_accvgpr_read_b32 v[vgprValuC+29], acc68 // copy acc to vreg[17]
v_accvgpr_read_b32 v[vgprValuC+30], acc72 // copy acc to vreg[18]
v_accvgpr_read_b32 v[vgprValuC+31], acc76 // copy acc to vreg[19]
v_accvgpr_read_b32 v[vgprValuC+32], acc80 // copy acc to vreg[20]
v_accvgpr_read_b32 v[vgprValuC+33], acc84 // copy acc to vreg[21]
v_accvgpr_read_b32 v[vgprValuC+34], acc88 // copy acc to vreg[22]
v_accvgpr_read_b32 v[vgprValuC+35], acc92 // copy acc to vreg[23]
v_accvgpr_read_b32 v[vgprValuC+40], acc96 // copy acc to vreg[24]
v_accvgpr_read_b32 v[vgprValuC+41], acc100 // copy acc to vreg[25]
v_accvgpr_read_b32 v[vgprValuC+42], acc104 // copy acc to vreg[26]
v_accvgpr_read_b32 v[vgprValuC+43], acc108 // copy acc to vreg[27]
v_accvgpr_read_b32 v[vgprValuC+44], acc112 // copy acc to vreg[28]
v_accvgpr_read_b32 v[vgprValuC+45], acc116 // copy acc to vreg[29]
v_accvgpr_read_b32 v[vgprValuC+46], acc120 // copy acc to vreg[30]
v_accvgpr_read_b32 v[vgprValuC+47], acc124 // copy acc to vreg[31]
v_accvgpr_read_b32 v[vgprValuC+48], acc1 // copy acc to vreg[32]
v_accvgpr_read_b32 v[vgprValuC+49], acc5 // copy acc to vreg[33]
v_accvgpr_read_b32 v[vgprValuC+50], acc9 // copy acc to vreg[34]
v_accvgpr_read_b32 v[vgprValuC+51], acc13 // copy acc to vreg[35]
v_accvgpr_read_b32 v[vgprValuC+52], acc17 // copy acc to vreg[36]
v_accvgpr_read_b32 v[vgprValuC+53], acc21 // copy acc to vreg[37]
v_accvgpr_read_b32 v[vgprValuC+54], acc25 // copy acc to vreg[38]
v_accvgpr_read_b32 v[vgprValuC+55], acc29 // copy acc to vreg[39]
v_accvgpr_read_b32 v[vgprValuC+60], acc33 // copy acc to vreg[40]
v_accvgpr_read_b32 v[vgprValuC+61], acc37 // copy acc to vreg[41]
v_accvgpr_read_b32 v[vgprValuC+62], acc41 // copy acc to vreg[42]
v_accvgpr_read_b32 v[vgprValuC+63], acc45 // copy acc to vreg[43]
v_accvgpr_read_b32 v[vgprValuC+64], acc49 // copy acc to vreg[44]
v_accvgpr_read_b32 v[vgprValuC+65], acc53 // copy acc to vreg[45]
v_accvgpr_read_b32 v[vgprValuC+66], acc57 // copy acc to vreg[46]
v_accvgpr_read_b32 v[vgprValuC+67], acc61 // copy acc to vreg[47]
v_accvgpr_read_b32 v[vgprValuC+68], acc65 // copy acc to vreg[48]
v_accvgpr_read_b32 v[vgprValuC+69], acc69 // copy acc to vreg[49]
v_accvgpr_read_b32 v[vgprValuC+70], acc73 // copy acc to vreg[50]
v_accvgpr_read_b32 v[vgprValuC+71], acc77 // copy acc to vreg[51]
v_accvgpr_read_b32 v[vgprValuC+72], acc81 // copy acc to vreg[52]
v_accvgpr_read_b32 v[vgprValuC+73], acc85 // copy acc to vreg[53]
v_accvgpr_read_b32 v[vgprValuC+74], acc89 // copy acc to vreg[54]
v_accvgpr_read_b32 v[vgprValuC+75], acc93 // copy acc to vreg[55]
v_accvgpr_read_b32 v[vgprValuC+80], acc97 // copy acc to vreg[56]
v_accvgpr_read_b32 v[vgprValuC+81], acc101 // copy acc to vreg[57]
v_accvgpr_read_b32 v[vgprValuC+82], acc105 // copy acc to vreg[58]
v_accvgpr_read_b32 v[vgprValuC+83], acc109 // copy acc to vreg[59]
v_accvgpr_read_b32 v[vgprValuC+84], acc113 // copy acc to vreg[60]
v_accvgpr_read_b32 v[vgprValuC+85], acc117 // copy acc to vreg[61]
v_accvgpr_read_b32 v[vgprValuC+86], acc121 // copy acc to vreg[62]
v_accvgpr_read_b32 v[vgprValuC+87], acc125 // copy acc to vreg[63]
v_accvgpr_read_b32 v[vgprValuC+88], acc2 // copy acc to vreg[64]
v_accvgpr_read_b32 v[vgprValuC+89], acc6 // copy acc to vreg[65]
v_accvgpr_read_b32 v[vgprValuC+90], acc10 // copy acc to vreg[66]
v_accvgpr_read_b32 v[vgprValuC+91], acc14 // copy acc to vreg[67]
v_accvgpr_read_b32 v[vgprValuC+92], acc18 // copy acc to vreg[68]
v_accvgpr_read_b32 v[vgprValuC+93], acc22 // copy acc to vreg[69]
v_accvgpr_read_b32 v[vgprValuC+94], acc26 // copy acc to vreg[70]
v_accvgpr_read_b32 v[vgprValuC+95], acc30 // copy acc to vreg[71]
v_accvgpr_read_b32 v[vgprValuC+100], acc34 // copy acc to vreg[72]
v_accvgpr_read_b32 v[vgprValuC+101], acc38 // copy acc to vreg[73]
v_accvgpr_read_b32 v[vgprValuC+102], acc42 // copy acc to vreg[74]
v_accvgpr_read_b32 v[vgprValuC+103], acc46 // copy acc to vreg[75]
v_accvgpr_read_b32 v[vgprValuC+104], acc50 // copy acc to vreg[76]
v_accvgpr_read_b32 v[vgprValuC+105], acc54 // copy acc to vreg[77]
v_accvgpr_read_b32 v[vgprValuC+106], acc58 // copy acc to vreg[78]
v_accvgpr_read_b32 v[vgprValuC+107], acc62 // copy acc to vreg[79]
v_accvgpr_read_b32 v[vgprValuC+108], acc66 // copy acc to vreg[80]
v_accvgpr_read_b32 v[vgprValuC+109], acc70 // copy acc to vreg[81]
v_accvgpr_read_b32 v[vgprValuC+110], acc74 // copy acc to vreg[82]
v_accvgpr_read_b32 v[vgprValuC+111], acc78 // copy acc to vreg[83]
v_accvgpr_read_b32 v[vgprValuC+112], acc82 // copy acc to vreg[84]
v_accvgpr_read_b32 v[vgprValuC+113], acc86 // copy acc to vreg[85]
v_accvgpr_read_b32 v[vgprValuC+114], acc90 // copy acc to vreg[86]
v_accvgpr_read_b32 v[vgprValuC+115], acc94 // copy acc to vreg[87]
v_accvgpr_read_b32 v[vgprValuC+120], acc98 // copy acc to vreg[88]
v_accvgpr_read_b32 v[vgprValuC+121], acc102 // copy acc to vreg[89]
v_accvgpr_read_b32 v[vgprValuC+122], acc106 // copy acc to vreg[90]
v_accvgpr_read_b32 v[vgprValuC+123], acc110 // copy acc to vreg[91]
v_accvgpr_read_b32 v[vgprValuC+124], acc114 // copy acc to vreg[92]
v_accvgpr_read_b32 v[vgprValuC+125], acc118 // copy acc to vreg[93]
v_accvgpr_read_b32 v[vgprValuC+126], acc122 // copy acc to vreg[94]
v_accvgpr_read_b32 v[vgprValuC+127], acc126 // copy acc to vreg[95]
v_accvgpr_read_b32 v[vgprValuC+128], acc3 // copy acc to vreg[96]
v_accvgpr_read_b32 v[vgprValuC+129], acc7 // copy acc to vreg[97]
v_accvgpr_read_b32 v[vgprValuC+130], acc11 // copy acc to vreg[98]
v_accvgpr_read_b32 v[vgprValuC+131], acc15 // copy acc to vreg[99]
v_accvgpr_read_b32 v[vgprValuC+132], acc19 // copy acc to vreg[100]
v_accvgpr_read_b32 v[vgprValuC+133], acc23 // copy acc to vreg[101]
v_accvgpr_read_b32 v[vgprValuC+134], acc27 // copy acc to vreg[102]
v_accvgpr_read_b32 v[vgprValuC+135], acc31 // copy acc to vreg[103]
v_accvgpr_read_b32 v[vgprValuC+140], acc35 // copy acc to vreg[104]
v_accvgpr_read_b32 v[vgprValuC+141], acc39 // copy acc to vreg[105]
v_accvgpr_read_b32 v[vgprValuC+142], acc43 // copy acc to vreg[106]
v_accvgpr_read_b32 v[vgprValuC+143], acc47 // copy acc to vreg[107]
v_accvgpr_read_b32 v[vgprValuC+144], acc51 // copy acc to vreg[108]
v_accvgpr_read_b32 v[vgprValuC+145], acc55 // copy acc to vreg[109]
v_accvgpr_read_b32 v[vgprValuC+146], acc59 // copy acc to vreg[110]
v_accvgpr_read_b32 v[vgprValuC+147], acc63 // copy acc to vreg[111]
v_accvgpr_read_b32 v[vgprValuC+148], acc67 // copy acc to vreg[112]
v_accvgpr_read_b32 v[vgprValuC+149], acc71 // copy acc to vreg[113]
v_accvgpr_read_b32 v[vgprValuC+150], acc75 // copy acc to vreg[114]
v_accvgpr_read_b32 v[vgprValuC+151], acc79 // copy acc to vreg[115]
v_accvgpr_read_b32 v[vgprValuC+152], acc83 // copy acc to vreg[116]
v_accvgpr_read_b32 v[vgprValuC+153], acc87 // copy acc to vreg[117]
v_accvgpr_read_b32 v[vgprValuC+154], acc91 // copy acc to vreg[118]
v_accvgpr_read_b32 v[vgprValuC+155], acc95 // copy acc to vreg[119]
v_accvgpr_read_b32 v[vgprValuC+160], acc99 // copy acc to vreg[120]
v_accvgpr_read_b32 v[vgprValuC+161], acc103 // copy acc to vreg[121]
v_accvgpr_read_b32 v[vgprValuC+162], acc107 // copy acc to vreg[122]
v_accvgpr_read_b32 v[vgprValuC+163], acc111 // copy acc to vreg[123]
v_accvgpr_read_b32 v[vgprValuC+164], acc115 // copy acc to vreg[124]
v_accvgpr_read_b32 v[vgprValuC+165], acc119 // copy acc to vreg[125]
v_accvgpr_read_b32 v[vgprValuC+166], acc123 // copy acc to vreg[126]
v_accvgpr_read_b32 v[vgprValuC+167], acc127 // copy acc to vreg[127]
v_accvgpr_read_b32 v[vgprValuC+168], acc128 // copy acc to vreg[128]
v_accvgpr_read_b32 v[vgprValuC+169], acc132 // copy acc to vreg[129]
v_accvgpr_read_b32 v[vgprValuC+170], acc136 // copy acc to vreg[130]
v_accvgpr_read_b32 v[vgprValuC+171], acc140 // copy acc to vreg[131]
v_accvgpr_read_b32 v[vgprValuC+172], acc144 // copy acc to vreg[132]
v_accvgpr_read_b32 v[vgprValuC+173], acc148 // copy acc to vreg[133]
v_accvgpr_read_b32 v[vgprValuC+174], acc152 // copy acc to vreg[134]
v_accvgpr_read_b32 v[vgprValuC+175], acc156 // copy acc to vreg[135]
v_accvgpr_read_b32 v[vgprValuC+180], acc160 // copy acc to vreg[136]
v_accvgpr_read_b32 v[vgprValuC+181], acc164 // copy acc to vreg[137]
v_accvgpr_read_b32 v[vgprValuC+182], acc168 // copy acc to vreg[138]
v_accvgpr_read_b32 v[vgprValuC+183], acc172 // copy acc to vreg[139]
v_accvgpr_read_b32 v[vgprValuC+184], acc176 // copy acc to vreg[140]
v_accvgpr_read_b32 v[vgprValuC+185], acc180 // copy acc to vreg[141]
v_accvgpr_read_b32 v[vgprValuC+186], acc184 // copy acc to vreg[142]
v_accvgpr_read_b32 v[vgprValuC+187], acc188 // copy acc to vreg[143]
v_accvgpr_read_b32 v[vgprValuC+188], acc192 // copy acc to vreg[144]
v_accvgpr_read_b32 v[vgprValuC+189], acc196 // copy acc to vreg[145]
v_accvgpr_read_b32 v[vgprValuC+190], acc200 // copy acc to vreg[146]
v_accvgpr_read_b32 v[vgprValuC+191], acc204 // copy acc to vreg[147]
v_accvgpr_read_b32 v[vgprValuC+192], acc208 // copy acc to vreg[148]
v_accvgpr_read_b32 v[vgprValuC+193], acc212 // copy acc to vreg[149]
v_accvgpr_read_b32 v[vgprValuC+194], acc216 // copy acc to vreg[150]
v_accvgpr_read_b32 v[vgprValuC+195], acc220 // copy acc to vreg[151]
v_accvgpr_read_b32 v[vgprValuC+200], acc224 // copy acc to vreg[152]
v_accvgpr_read_b32 v[vgprValuC+201], acc228 // copy acc to vreg[153]
v_accvgpr_read_b32 v[vgprValuC+202], acc232 // copy acc to vreg[154]
v_accvgpr_read_b32 v[vgprValuC+203], acc236 // copy acc to vreg[155]
v_accvgpr_read_b32 v[vgprValuC+204], acc240 // copy acc to vreg[156]
v_accvgpr_read_b32 v[vgprValuC+205], acc244 // copy acc to vreg[157]
v_accvgpr_read_b32 v[vgprValuC+206], acc248 // copy acc to vreg[158]
v_accvgpr_read_b32 v[vgprValuC+207], acc252 // copy acc to vreg[159]
v_accvgpr_read_b32 v[vgprValuC+208], acc129 // copy acc to vreg[160]
v_accvgpr_read_b32 v[vgprValuC+209], acc133 // copy acc to vreg[161]
v_accvgpr_read_b32 v[vgprValuC+210], acc137 // copy acc to vreg[162]
v_accvgpr_read_b32 v[vgprValuC+211], acc141 // copy acc to vreg[163]
v_accvgpr_read_b32 v[vgprValuC+212], acc145 // copy acc to vreg[164]
v_accvgpr_read_b32 v[vgprValuC+213], acc149 // copy acc to vreg[165]
v_accvgpr_read_b32 v[vgprValuC+214], acc153 // copy acc to vreg[166]
v_accvgpr_read_b32 v[vgprValuC+215], acc157 // copy acc to vreg[167]
v_accvgpr_read_b32 v[vgprValuC+220], acc161 // copy acc to vreg[168]
v_accvgpr_read_b32 v[vgprValuC+221], acc165 // copy acc to vreg[169]
v_accvgpr_read_b32 v[vgprValuC+222], acc169 // copy acc to vreg[170]
v_accvgpr_read_b32 v[vgprValuC+223], acc173 // copy acc to vreg[171]
v_accvgpr_read_b32 v[vgprValuC+224], acc177 // copy acc to vreg[172]
v_accvgpr_read_b32 v[vgprValuC+225], acc181 // copy acc to vreg[173]
v_accvgpr_read_b32 v[vgprValuC+226], acc185 // copy acc to vreg[174]
v_accvgpr_read_b32 v[vgprValuC+227], acc189 // copy acc to vreg[175]
v_accvgpr_read_b32 v[vgprValuC+232], acc193 // copy acc to vreg[176]
v_accvgpr_read_b32 v[vgprValuC+233], acc197 // copy acc to vreg[177]
v_accvgpr_read_b32 v[vgprValuC+234], acc201 // copy acc to vreg[178]
v_accvgpr_read_b32 v[vgprValuC+235], acc205 // copy acc to vreg[179]
v_accvgpr_read_b32 v[vgprValuC+236], acc209 // copy acc to vreg[180]
v_accvgpr_read_b32 v[vgprValuC+237], acc213 // copy acc to vreg[181]
v_accvgpr_read_b32 v[vgprValuC+238], acc217 // copy acc to vreg[182]
v_accvgpr_read_b32 v[vgprValuC+239], acc221 // copy acc to vreg[183]
v_accvgpr_read_b32 v[vgprValuC+240], acc225 // copy acc to vreg[184]
v_accvgpr_read_b32 v[vgprValuC+241], acc229 // copy acc to vreg[185]
v_accvgpr_read_b32 v[vgprValuC+242], acc233 // copy acc to vreg[186]
v_accvgpr_read_b32 v[vgprValuC+243], acc237 // copy acc to vreg[187]
v_accvgpr_read_b32 v[vgprValuC+248], acc241 // copy acc to vreg[188]
v_accvgpr_read_b32 v[vgprValuC+249], acc245 // copy acc to vreg[189]
v_accvgpr_read_b32 v[vgprValuC+250], acc249 // copy acc to vreg[190]
v_accvgpr_read_b32 v[vgprValuC+251], acc253 // copy acc to vreg[191]
s_nop 1                                            // 2 wait states required before reading vgpr

/* rC *= alpha batchElements=[(0, 0, 0, 0), (0, 1, 0, 0), (0, 0, 1, 0), (0, 1, 1, 0), (0, 0, 2, 0), (0, 1, 2, 0), (0, 0, 3, 0), (0, 1, 3, 0), (0, 0, 4, 0), (0, 1, 4, 0), (0, 0, 5, 0), (0, 1, 5, 0), (0, 0, 6, 0), (0, 1, 6, 0), (0, 0, 7, 0), (0, 1, 7, 0), (0, 0, 8, 0), (0, 1, 8, 0), (0, 0, 9, 0), (0, 1, 9, 0), (0, 0, 10, 0), (0, 1, 10, 0), (0, 0, 11, 0), (0, 1, 11, 0), (0, 0, 12, 0), (0, 1, 12, 0), (0, 0, 13, 0), (0, 1, 13, 0), (0, 0, 14, 0), (0, 1, 14, 0), (0, 0, 15, 0), (0, 1, 15, 0), (1, 0, 0, 0), (1, 1, 0, 0), (1, 0, 1, 0), (1, 1, 1, 0), (1, 0, 2, 0), (1, 1, 2, 0), (1, 0, 3, 0), (1, 1, 3, 0), (1, 0, 4, 0), (1, 1, 4, 0), (1, 0, 5, 0), (1, 1, 5, 0), (1, 0, 6, 0), (1, 1, 6, 0), (1, 0, 7, 0), (1, 1, 7, 0)] */
v_mul_f32 v[vgprValuC+8], s[sgprAlpha], v[vgprValuC+8] // *= alpha
v_mul_f32 v[vgprValuC+9], s[sgprAlpha], v[vgprValuC+9] // *= alpha
	;; [unrolled: 1-line block ×192, first 2 shown]

/* apply mask, calc new C and issue writes */
v_cvt_f16_f32 v[vgprValuC+8], v[vgprValuC+8]       // convert C to fp16
v_cvt_f16_f32 v[vgprValuC+9], v[vgprValuC+9]       // convert C to fp16
v_pack_b32_f16 v8, v[vgprValuC+8], v[vgprValuC+9]  // Pack with neighbor
v_cvt_f16_f32 v[vgprValuC+10], v[vgprValuC+10]     // convert C to fp16
v_cvt_f16_f32 v[vgprValuC+11], v[vgprValuC+11]     // convert C to fp16
v_pack_b32_f16 v9, v[vgprValuC+10], v[vgprValuC+11] // Pack with neighbor
_buffer_store_b64 v[8:9], v6, s[sgprSrdD:sgprSrdD+3], 0, offen, offset:0,  sc0 sc1 // store D
v_cvt_f16_f32 v[vgprValuC+12], v[vgprValuC+12]     // convert C to fp16
v_cvt_f16_f32 v[vgprValuC+13], v[vgprValuC+13]     // convert C to fp16
v_pack_b32_f16 v12, v[vgprValuC+12], v[vgprValuC+13] // Pack with neighbor
v_cvt_f16_f32 v[vgprValuC+14], v[vgprValuC+14]     // convert C to fp16
v_cvt_f16_f32 v[vgprValuC+15], v[vgprValuC+15]     // convert C to fp16
v_pack_b32_f16 v13, v[vgprValuC+14], v[vgprValuC+15] // Pack with neighbor
_buffer_store_b64 v[12:13], v7, s[sgprSrdD:sgprSrdD+3], 0, offen, offset:0,  sc0 sc1 // store D
v_cvt_f16_f32 v[vgprValuC+20], v[vgprValuC+20]     // convert C to fp16
v_cvt_f16_f32 v[vgprValuC+21], v[vgprValuC+21]     // convert C to fp16
v_pack_b32_f16 v20, v[vgprValuC+20], v[vgprValuC+21] // Pack with neighbor
	;; [unrolled: 7-line block ×17, first 2 shown]
v_cvt_f16_f32 v[vgprValuC+94], v[vgprValuC+94]     // convert C to fp16
v_cvt_f16_f32 v[vgprValuC+95], v[vgprValuC+95]     // convert C to fp16
v_pack_b32_f16 v93, v[vgprValuC+94], v[vgprValuC+95] // Pack with neighbor
_buffer_store_b64 v[92:93], v79, s[sgprSrdD:sgprSrdD+3], 0, offen, offset:0,  sc0 sc1 // store D
v_cvt_f16_f32 v[vgprValuC+100], v[vgprValuC+100]   // convert C to fp16
v_cvt_f16_f32 v[vgprValuC+101], v[vgprValuC+101]   // convert C to fp16
v_pack_b32_f16 v100, v[vgprValuC+100], v[vgprValuC+101] // Pack with neighbor
v_cvt_f16_f32 v[vgprValuC+102], v[vgprValuC+102]   // convert C to fp16
v_cvt_f16_f32 v[vgprValuC+103], v[vgprValuC+103]   // convert C to fp16
v_pack_b32_f16 v101, v[vgprValuC+102], v[vgprValuC+103] // Pack with neighbor
_buffer_store_b64 v[100:101], v96, s[sgprSrdD:sgprSrdD+3], 0, offen, offset:0,  sc0 sc1 // store D
v_cvt_f16_f32 v[vgprValuC+104], v[vgprValuC+104]   // convert C to fp16
v_cvt_f16_f32 v[vgprValuC+105], v[vgprValuC+105]   // convert C to fp16
v_pack_b32_f16 v104, v[vgprValuC+104], v[vgprValuC+105] // Pack with neighbor
v_cvt_f16_f32 v[vgprValuC+106], v[vgprValuC+106]   // convert C to fp16
v_cvt_f16_f32 v[vgprValuC+107], v[vgprValuC+107]   // convert C to fp16
	;; [unrolled: 7-line block ×30, first 2 shown]
v_pack_b32_f16 v249, v[vgprValuC+250], v[vgprValuC+251] // Pack with neighbor
_buffer_store_b64 v[248:249], v244, s[sgprSrdD:sgprSrdD+3], 0, offen, offset:0,  sc0 sc1 // store D
s_nop 0                                            // 1 wait state required when next inst writes vgprs held by previous dwordx4 store inst
/* optSingleColVgpr=0 optSharedColVgpr=0 optSGPRUsage=BufferLoad_Edge_Mask optSrdIncForRow=0 */

/******************************************/
/* Global Write Alpha Edge Batch #1 (d1,d0,vc1,vc0) = */
/*    (1,0,8,0:vw4); (1,1,8,0:vw4); (1,0,9,0:vw4); (1,1,9,0:vw4); (1,0,10,0:vw4); (1,1,10,0:vw4); (1,0,11,0:vw4); (1,1,11,0:vw4); (1,0,12,0:vw4); (1,1,12,0:vw4); (1,0,13,0:vw4); (1,1,13,0:vw4); (1,0,14,0:vw4); (1,1,14,0:vw4); (1,0,15,0:vw4); (1,1,15,0:vw4) */
/******************************************/

/* calc coords, apply mask, and issue loads (if necessary) */
/* (d1,vc1,d0,vc0)=(1,8,0,0) */
_v_add_co_u32 v1, vcc, v1, 1                       // coord1.1: coord1Vgpr += d1*sg1*VW + vc1

/* Fix for UseInitialStridesCD, emitAddressSetupCode */
_v_add_u32 v2, v2, s[sgprStrideC1J]                // ROWINC- Move cinRowPtr to next row
_v_add_u32 v3, v3, s[sgprStrideD1J]                // Move coutRowPtr to next row
v_cmp_lt_u32 s[52:53], v0, s[sgprSizeI]            // coord0 < size0
v_cmp_lt_u32 s[56:57], v1, s[sgprSizeJ]            // coord1 < size1
s_and_b64 s[56:57], s[52:53], s[56:57]             // in0 && in1
_v_add_lshl_u32 v6, v3, v0, 0x1                    // scaleToBpe: accumulate d0 lower and *= bpe into Cin addr
v_cndmask_b32 v6, -1, v6, s[56:57]                 // LDD clip if OOB. offset
/* (d1,vc1,d0,vc0)=(1,8,1,0) */
s_mov_b32 s52, 128                                 // coordOffset0 d0=1 vc0=0
_v_add_co_u32 v4, vcc, v0, s52                     // coord0.2: coord0 += d0*sg0*VW + vc0
v_cmp_lt_u32 s[52:53], v4, s[sgprSizeI]            // coord0 < size0
v_cmp_lt_u32 s[56:57], v1, s[sgprSizeJ]            // coord1 < size1
s_and_b64 s[56:57], s[52:53], s[56:57]             // in0 && in1
_v_add_lshl_u32 v7, v3, v4, 0x1                    // scaleToBpe: accumulate d0 lower and *= bpe into Cin addr
v_cndmask_b32 v7, -1, v7, s[56:57]                 // LDD clip if OOB. offset
/* (d1,vc1,d0,vc0)=(1,9,0,0) */
_v_add_co_u32 v1, vcc, v1, 1                       // coord1.1: coord1Vgpr += d1*sg1*VW + vc1

/* Fix for UseInitialStridesCD, emitAddressSetupCode */
_v_add_u32 v2, v2, s[sgprStrideC1J]                // ROWINC- Move cinRowPtr to next row
_v_add_u32 v3, v3, s[sgprStrideD1J]                // Move coutRowPtr to next row
v_cmp_lt_u32 s[52:53], v0, s[sgprSizeI]            // coord0 < size0
v_cmp_lt_u32 s[56:57], v1, s[sgprSizeJ]            // coord1 < size1
s_and_b64 s[56:57], s[52:53], s[56:57]             // in0 && in1
_v_add_lshl_u32 v16, v3, v0, 0x1                   // scaleToBpe: accumulate d0 lower and *= bpe into Cin addr
v_cndmask_b32 v16, -1, v16, s[56:57]               // LDD clip if OOB. offset
/* (d1,vc1,d0,vc0)=(1,9,1,0) */
s_mov_b32 s52, 128                                 // coordOffset0 d0=1 vc0=0
_v_add_co_u32 v4, vcc, v0, s52                     // coord0.2: coord0 += d0*sg0*VW + vc0
v_cmp_lt_u32 s[52:53], v4, s[sgprSizeI]            // coord0 < size0
v_cmp_lt_u32 s[56:57], v1, s[sgprSizeJ]            // coord1 < size1
s_and_b64 s[56:57], s[52:53], s[56:57]             // in0 && in1
_v_add_lshl_u32 v17, v3, v4, 0x1                   // scaleToBpe: accumulate d0 lower and *= bpe into Cin addr
v_cndmask_b32 v17, -1, v17, s[56:57]               // LDD clip if OOB. offset
/* (d1,vc1,d0,vc0)=(1,10,0,0) */
_v_add_co_u32 v1, vcc, v1, 1                       // coord1.1: coord1Vgpr += d1*sg1*VW + vc1

/* Fix for UseInitialStridesCD, emitAddressSetupCode */
_v_add_u32 v2, v2, s[sgprStrideC1J]                // ROWINC- Move cinRowPtr to next row
_v_add_u32 v3, v3, s[sgprStrideD1J]                // Move coutRowPtr to next row
v_cmp_lt_u32 s[52:53], v0, s[sgprSizeI]            // coord0 < size0
v_cmp_lt_u32 s[56:57], v1, s[sgprSizeJ]            // coord1 < size1
s_and_b64 s[56:57], s[52:53], s[56:57]             // in0 && in1
_v_add_lshl_u32 v18, v3, v0, 0x1                   // scaleToBpe: accumulate d0 lower and *= bpe into Cin addr
v_cndmask_b32 v18, -1, v18, s[56:57]               // LDD clip if OOB. offset
/* (d1,vc1,d0,vc0)=(1,10,1,0) */
s_mov_b32 s52, 128                                 // coordOffset0 d0=1 vc0=0
_v_add_co_u32 v4, vcc, v0, s52                     // coord0.2: coord0 += d0*sg0*VW + vc0
v_cmp_lt_u32 s[52:53], v4, s[sgprSizeI]            // coord0 < size0
v_cmp_lt_u32 s[56:57], v1, s[sgprSizeJ]            // coord1 < size1
s_and_b64 s[56:57], s[52:53], s[56:57]             // in0 && in1
_v_add_lshl_u32 v19, v3, v4, 0x1                   // scaleToBpe: accumulate d0 lower and *= bpe into Cin addr
v_cndmask_b32 v19, -1, v19, s[56:57]               // LDD clip if OOB. offset
	;; [unrolled: 19-line block ×7, first 2 shown]
v_accvgpr_read_b32 v[vgprValuC+8], acc130 // copy acc to vreg[192]
v_accvgpr_read_b32 v[vgprValuC+9], acc134 // copy acc to vreg[193]
v_accvgpr_read_b32 v[vgprValuC+10], acc138 // copy acc to vreg[194]
v_accvgpr_read_b32 v[vgprValuC+11], acc142 // copy acc to vreg[195]
v_accvgpr_read_b32 v[vgprValuC+12], acc146 // copy acc to vreg[196]
v_accvgpr_read_b32 v[vgprValuC+13], acc150 // copy acc to vreg[197]
v_accvgpr_read_b32 v[vgprValuC+14], acc154 // copy acc to vreg[198]
v_accvgpr_read_b32 v[vgprValuC+15], acc158 // copy acc to vreg[199]
v_accvgpr_read_b32 v[vgprValuC+20], acc162 // copy acc to vreg[200]
v_accvgpr_read_b32 v[vgprValuC+21], acc166 // copy acc to vreg[201]
v_accvgpr_read_b32 v[vgprValuC+22], acc170 // copy acc to vreg[202]
v_accvgpr_read_b32 v[vgprValuC+23], acc174 // copy acc to vreg[203]
v_accvgpr_read_b32 v[vgprValuC+24], acc178 // copy acc to vreg[204]
v_accvgpr_read_b32 v[vgprValuC+25], acc182 // copy acc to vreg[205]
v_accvgpr_read_b32 v[vgprValuC+26], acc186 // copy acc to vreg[206]
v_accvgpr_read_b32 v[vgprValuC+27], acc190 // copy acc to vreg[207]
v_accvgpr_read_b32 v[vgprValuC+28], acc194 // copy acc to vreg[208]
v_accvgpr_read_b32 v[vgprValuC+29], acc198 // copy acc to vreg[209]
v_accvgpr_read_b32 v[vgprValuC+30], acc202 // copy acc to vreg[210]
v_accvgpr_read_b32 v[vgprValuC+31], acc206 // copy acc to vreg[211]
v_accvgpr_read_b32 v[vgprValuC+32], acc210 // copy acc to vreg[212]
v_accvgpr_read_b32 v[vgprValuC+33], acc214 // copy acc to vreg[213]
v_accvgpr_read_b32 v[vgprValuC+34], acc218 // copy acc to vreg[214]
v_accvgpr_read_b32 v[vgprValuC+35], acc222 // copy acc to vreg[215]
v_accvgpr_read_b32 v[vgprValuC+40], acc226 // copy acc to vreg[216]
v_accvgpr_read_b32 v[vgprValuC+41], acc230 // copy acc to vreg[217]
v_accvgpr_read_b32 v[vgprValuC+42], acc234 // copy acc to vreg[218]
v_accvgpr_read_b32 v[vgprValuC+43], acc238 // copy acc to vreg[219]
v_accvgpr_read_b32 v[vgprValuC+44], acc242 // copy acc to vreg[220]
v_accvgpr_read_b32 v[vgprValuC+45], acc246 // copy acc to vreg[221]
v_accvgpr_read_b32 v[vgprValuC+46], acc250 // copy acc to vreg[222]
v_accvgpr_read_b32 v[vgprValuC+47], acc254 // copy acc to vreg[223]
v_accvgpr_read_b32 v[vgprValuC+48], acc131 // copy acc to vreg[224]
v_accvgpr_read_b32 v[vgprValuC+49], acc135 // copy acc to vreg[225]
v_accvgpr_read_b32 v[vgprValuC+50], acc139 // copy acc to vreg[226]
v_accvgpr_read_b32 v[vgprValuC+51], acc143 // copy acc to vreg[227]
v_accvgpr_read_b32 v[vgprValuC+52], acc147 // copy acc to vreg[228]
v_accvgpr_read_b32 v[vgprValuC+53], acc151 // copy acc to vreg[229]
v_accvgpr_read_b32 v[vgprValuC+54], acc155 // copy acc to vreg[230]
v_accvgpr_read_b32 v[vgprValuC+55], acc159 // copy acc to vreg[231]
v_accvgpr_read_b32 v[vgprValuC+60], acc163 // copy acc to vreg[232]
v_accvgpr_read_b32 v[vgprValuC+61], acc167 // copy acc to vreg[233]
v_accvgpr_read_b32 v[vgprValuC+62], acc171 // copy acc to vreg[234]
v_accvgpr_read_b32 v[vgprValuC+63], acc175 // copy acc to vreg[235]
v_accvgpr_read_b32 v[vgprValuC+64], acc179 // copy acc to vreg[236]
v_accvgpr_read_b32 v[vgprValuC+65], acc183 // copy acc to vreg[237]
v_accvgpr_read_b32 v[vgprValuC+66], acc187 // copy acc to vreg[238]
v_accvgpr_read_b32 v[vgprValuC+67], acc191 // copy acc to vreg[239]
v_accvgpr_read_b32 v[vgprValuC+68], acc195 // copy acc to vreg[240]
v_accvgpr_read_b32 v[vgprValuC+69], acc199 // copy acc to vreg[241]
v_accvgpr_read_b32 v[vgprValuC+70], acc203 // copy acc to vreg[242]
v_accvgpr_read_b32 v[vgprValuC+71], acc207 // copy acc to vreg[243]
v_accvgpr_read_b32 v[vgprValuC+72], acc211 // copy acc to vreg[244]
v_accvgpr_read_b32 v[vgprValuC+73], acc215 // copy acc to vreg[245]
v_accvgpr_read_b32 v[vgprValuC+74], acc219 // copy acc to vreg[246]
v_accvgpr_read_b32 v[vgprValuC+75], acc223 // copy acc to vreg[247]
v_accvgpr_read_b32 v[vgprValuC+80], acc227 // copy acc to vreg[248]
v_accvgpr_read_b32 v[vgprValuC+81], acc231 // copy acc to vreg[249]
v_accvgpr_read_b32 v[vgprValuC+82], acc235 // copy acc to vreg[250]
v_accvgpr_read_b32 v[vgprValuC+83], acc239 // copy acc to vreg[251]
v_accvgpr_read_b32 v[vgprValuC+84], acc243 // copy acc to vreg[252]
v_accvgpr_read_b32 v[vgprValuC+85], acc247 // copy acc to vreg[253]
v_accvgpr_read_b32 v[vgprValuC+86], acc251 // copy acc to vreg[254]
v_accvgpr_read_b32 v[vgprValuC+87], acc255 // copy acc to vreg[255]
s_nop 1                                            // 2 wait states required before reading vgpr

/* rC *= alpha batchElements=[(1, 0, 8, 0), (1, 1, 8, 0), (1, 0, 9, 0), (1, 1, 9, 0), (1, 0, 10, 0), (1, 1, 10, 0), (1, 0, 11, 0), (1, 1, 11, 0), (1, 0, 12, 0), (1, 1, 12, 0), (1, 0, 13, 0), (1, 1, 13, 0), (1, 0, 14, 0), (1, 1, 14, 0), (1, 0, 15, 0), (1, 1, 15, 0)] */
v_mul_f32 v[vgprValuC+8], s[sgprAlpha], v[vgprValuC+8] // *= alpha
v_mul_f32 v[vgprValuC+9], s[sgprAlpha], v[vgprValuC+9] // *= alpha
v_mul_f32 v[vgprValuC+10], s[sgprAlpha], v[vgprValuC+10] // *= alpha
v_mul_f32 v[vgprValuC+11], s[sgprAlpha], v[vgprValuC+11] // *= alpha
v_mul_f32 v[vgprValuC+12], s[sgprAlpha], v[vgprValuC+12] // *= alpha
v_mul_f32 v[vgprValuC+13], s[sgprAlpha], v[vgprValuC+13] // *= alpha
v_mul_f32 v[vgprValuC+14], s[sgprAlpha], v[vgprValuC+14] // *= alpha
v_mul_f32 v[vgprValuC+15], s[sgprAlpha], v[vgprValuC+15] // *= alpha
v_mul_f32 v[vgprValuC+20], s[sgprAlpha], v[vgprValuC+20] // *= alpha
v_mul_f32 v[vgprValuC+21], s[sgprAlpha], v[vgprValuC+21] // *= alpha
v_mul_f32 v[vgprValuC+22], s[sgprAlpha], v[vgprValuC+22] // *= alpha
v_mul_f32 v[vgprValuC+23], s[sgprAlpha], v[vgprValuC+23] // *= alpha
v_mul_f32 v[vgprValuC+24], s[sgprAlpha], v[vgprValuC+24] // *= alpha
v_mul_f32 v[vgprValuC+25], s[sgprAlpha], v[vgprValuC+25] // *= alpha
v_mul_f32 v[vgprValuC+26], s[sgprAlpha], v[vgprValuC+26] // *= alpha
v_mul_f32 v[vgprValuC+27], s[sgprAlpha], v[vgprValuC+27] // *= alpha
v_mul_f32 v[vgprValuC+28], s[sgprAlpha], v[vgprValuC+28] // *= alpha
v_mul_f32 v[vgprValuC+29], s[sgprAlpha], v[vgprValuC+29] // *= alpha
v_mul_f32 v[vgprValuC+30], s[sgprAlpha], v[vgprValuC+30] // *= alpha
v_mul_f32 v[vgprValuC+31], s[sgprAlpha], v[vgprValuC+31] // *= alpha
v_mul_f32 v[vgprValuC+32], s[sgprAlpha], v[vgprValuC+32] // *= alpha
v_mul_f32 v[vgprValuC+33], s[sgprAlpha], v[vgprValuC+33] // *= alpha
v_mul_f32 v[vgprValuC+34], s[sgprAlpha], v[vgprValuC+34] // *= alpha
v_mul_f32 v[vgprValuC+35], s[sgprAlpha], v[vgprValuC+35] // *= alpha
v_mul_f32 v[vgprValuC+40], s[sgprAlpha], v[vgprValuC+40] // *= alpha
v_mul_f32 v[vgprValuC+41], s[sgprAlpha], v[vgprValuC+41] // *= alpha
v_mul_f32 v[vgprValuC+42], s[sgprAlpha], v[vgprValuC+42] // *= alpha
v_mul_f32 v[vgprValuC+43], s[sgprAlpha], v[vgprValuC+43] // *= alpha
v_mul_f32 v[vgprValuC+44], s[sgprAlpha], v[vgprValuC+44] // *= alpha
v_mul_f32 v[vgprValuC+45], s[sgprAlpha], v[vgprValuC+45] // *= alpha
v_mul_f32 v[vgprValuC+46], s[sgprAlpha], v[vgprValuC+46] // *= alpha
v_mul_f32 v[vgprValuC+47], s[sgprAlpha], v[vgprValuC+47] // *= alpha
v_mul_f32 v[vgprValuC+48], s[sgprAlpha], v[vgprValuC+48] // *= alpha
v_mul_f32 v[vgprValuC+49], s[sgprAlpha], v[vgprValuC+49] // *= alpha
v_mul_f32 v[vgprValuC+50], s[sgprAlpha], v[vgprValuC+50] // *= alpha
v_mul_f32 v[vgprValuC+51], s[sgprAlpha], v[vgprValuC+51] // *= alpha
v_mul_f32 v[vgprValuC+52], s[sgprAlpha], v[vgprValuC+52] // *= alpha
v_mul_f32 v[vgprValuC+53], s[sgprAlpha], v[vgprValuC+53] // *= alpha
v_mul_f32 v[vgprValuC+54], s[sgprAlpha], v[vgprValuC+54] // *= alpha
v_mul_f32 v[vgprValuC+55], s[sgprAlpha], v[vgprValuC+55] // *= alpha
v_mul_f32 v[vgprValuC+60], s[sgprAlpha], v[vgprValuC+60] // *= alpha
v_mul_f32 v[vgprValuC+61], s[sgprAlpha], v[vgprValuC+61] // *= alpha
v_mul_f32 v[vgprValuC+62], s[sgprAlpha], v[vgprValuC+62] // *= alpha
v_mul_f32 v[vgprValuC+63], s[sgprAlpha], v[vgprValuC+63] // *= alpha
v_mul_f32 v[vgprValuC+64], s[sgprAlpha], v[vgprValuC+64] // *= alpha
v_mul_f32 v[vgprValuC+65], s[sgprAlpha], v[vgprValuC+65] // *= alpha
v_mul_f32 v[vgprValuC+66], s[sgprAlpha], v[vgprValuC+66] // *= alpha
v_mul_f32 v[vgprValuC+67], s[sgprAlpha], v[vgprValuC+67] // *= alpha
v_mul_f32 v[vgprValuC+68], s[sgprAlpha], v[vgprValuC+68] // *= alpha
v_mul_f32 v[vgprValuC+69], s[sgprAlpha], v[vgprValuC+69] // *= alpha
v_mul_f32 v[vgprValuC+70], s[sgprAlpha], v[vgprValuC+70] // *= alpha
v_mul_f32 v[vgprValuC+71], s[sgprAlpha], v[vgprValuC+71] // *= alpha
v_mul_f32 v[vgprValuC+72], s[sgprAlpha], v[vgprValuC+72] // *= alpha
v_mul_f32 v[vgprValuC+73], s[sgprAlpha], v[vgprValuC+73] // *= alpha
v_mul_f32 v[vgprValuC+74], s[sgprAlpha], v[vgprValuC+74] // *= alpha
v_mul_f32 v[vgprValuC+75], s[sgprAlpha], v[vgprValuC+75] // *= alpha
v_mul_f32 v[vgprValuC+80], s[sgprAlpha], v[vgprValuC+80] // *= alpha
v_mul_f32 v[vgprValuC+81], s[sgprAlpha], v[vgprValuC+81] // *= alpha
v_mul_f32 v[vgprValuC+82], s[sgprAlpha], v[vgprValuC+82] // *= alpha
v_mul_f32 v[vgprValuC+83], s[sgprAlpha], v[vgprValuC+83] // *= alpha
v_mul_f32 v[vgprValuC+84], s[sgprAlpha], v[vgprValuC+84] // *= alpha
v_mul_f32 v[vgprValuC+85], s[sgprAlpha], v[vgprValuC+85] // *= alpha
v_mul_f32 v[vgprValuC+86], s[sgprAlpha], v[vgprValuC+86] // *= alpha
v_mul_f32 v[vgprValuC+87], s[sgprAlpha], v[vgprValuC+87] // *= alpha

/* apply mask, calc new C and issue writes */
v_cvt_f16_f32 v[vgprValuC+8], v[vgprValuC+8]       // convert C to fp16
v_cvt_f16_f32 v[vgprValuC+9], v[vgprValuC+9]       // convert C to fp16
v_pack_b32_f16 v8, v[vgprValuC+8], v[vgprValuC+9]  // Pack with neighbor
v_cvt_f16_f32 v[vgprValuC+10], v[vgprValuC+10]     // convert C to fp16
v_cvt_f16_f32 v[vgprValuC+11], v[vgprValuC+11]     // convert C to fp16
v_pack_b32_f16 v9, v[vgprValuC+10], v[vgprValuC+11] // Pack with neighbor
_buffer_store_b64 v[8:9], v6, s[sgprSrdD:sgprSrdD+3], 0, offen, offset:0,  sc0 sc1 // store D
v_cvt_f16_f32 v[vgprValuC+12], v[vgprValuC+12]     // convert C to fp16
v_cvt_f16_f32 v[vgprValuC+13], v[vgprValuC+13]     // convert C to fp16
v_pack_b32_f16 v12, v[vgprValuC+12], v[vgprValuC+13] // Pack with neighbor
v_cvt_f16_f32 v[vgprValuC+14], v[vgprValuC+14]     // convert C to fp16
v_cvt_f16_f32 v[vgprValuC+15], v[vgprValuC+15]     // convert C to fp16
v_pack_b32_f16 v13, v[vgprValuC+14], v[vgprValuC+15] // Pack with neighbor
_buffer_store_b64 v[12:13], v7, s[sgprSrdD:sgprSrdD+3], 0, offen, offset:0,  sc0 sc1 // store D
v_cvt_f16_f32 v[vgprValuC+20], v[vgprValuC+20]     // convert C to fp16
v_cvt_f16_f32 v[vgprValuC+21], v[vgprValuC+21]     // convert C to fp16
v_pack_b32_f16 v20, v[vgprValuC+20], v[vgprValuC+21] // Pack with neighbor
v_cvt_f16_f32 v[vgprValuC+22], v[vgprValuC+22]     // convert C to fp16
v_cvt_f16_f32 v[vgprValuC+23], v[vgprValuC+23]     // convert C to fp16
v_pack_b32_f16 v21, v[vgprValuC+22], v[vgprValuC+23] // Pack with neighbor
_buffer_store_b64 v[20:21], v16, s[sgprSrdD:sgprSrdD+3], 0, offen, offset:0,  sc0 sc1 // store D
v_cvt_f16_f32 v[vgprValuC+24], v[vgprValuC+24]     // convert C to fp16
v_cvt_f16_f32 v[vgprValuC+25], v[vgprValuC+25]     // convert C to fp16
v_pack_b32_f16 v24, v[vgprValuC+24], v[vgprValuC+25] // Pack with neighbor
v_cvt_f16_f32 v[vgprValuC+26], v[vgprValuC+26]     // convert C to fp16
v_cvt_f16_f32 v[vgprValuC+27], v[vgprValuC+27]     // convert C to fp16
v_pack_b32_f16 v25, v[vgprValuC+26], v[vgprValuC+27] // Pack with neighbor
_buffer_store_b64 v[24:25], v17, s[sgprSrdD:sgprSrdD+3], 0, offen, offset:0,  sc0 sc1 // store D
v_cvt_f16_f32 v[vgprValuC+28], v[vgprValuC+28]     // convert C to fp16
v_cvt_f16_f32 v[vgprValuC+29], v[vgprValuC+29]     // convert C to fp16
v_pack_b32_f16 v28, v[vgprValuC+28], v[vgprValuC+29] // Pack with neighbor
v_cvt_f16_f32 v[vgprValuC+30], v[vgprValuC+30]     // convert C to fp16
v_cvt_f16_f32 v[vgprValuC+31], v[vgprValuC+31]     // convert C to fp16
v_pack_b32_f16 v29, v[vgprValuC+30], v[vgprValuC+31] // Pack with neighbor
_buffer_store_b64 v[28:29], v18, s[sgprSrdD:sgprSrdD+3], 0, offen, offset:0,  sc0 sc1 // store D
v_cvt_f16_f32 v[vgprValuC+32], v[vgprValuC+32]     // convert C to fp16
v_cvt_f16_f32 v[vgprValuC+33], v[vgprValuC+33]     // convert C to fp16
v_pack_b32_f16 v32, v[vgprValuC+32], v[vgprValuC+33] // Pack with neighbor
v_cvt_f16_f32 v[vgprValuC+34], v[vgprValuC+34]     // convert C to fp16
v_cvt_f16_f32 v[vgprValuC+35], v[vgprValuC+35]     // convert C to fp16
v_pack_b32_f16 v33, v[vgprValuC+34], v[vgprValuC+35] // Pack with neighbor
_buffer_store_b64 v[32:33], v19, s[sgprSrdD:sgprSrdD+3], 0, offen, offset:0,  sc0 sc1 // store D
v_cvt_f16_f32 v[vgprValuC+40], v[vgprValuC+40]     // convert C to fp16
v_cvt_f16_f32 v[vgprValuC+41], v[vgprValuC+41]     // convert C to fp16
v_pack_b32_f16 v40, v[vgprValuC+40], v[vgprValuC+41] // Pack with neighbor
v_cvt_f16_f32 v[vgprValuC+42], v[vgprValuC+42]     // convert C to fp16
v_cvt_f16_f32 v[vgprValuC+43], v[vgprValuC+43]     // convert C to fp16
v_pack_b32_f16 v41, v[vgprValuC+42], v[vgprValuC+43] // Pack with neighbor
_buffer_store_b64 v[40:41], v36, s[sgprSrdD:sgprSrdD+3], 0, offen, offset:0,  sc0 sc1 // store D
v_cvt_f16_f32 v[vgprValuC+44], v[vgprValuC+44]     // convert C to fp16
v_cvt_f16_f32 v[vgprValuC+45], v[vgprValuC+45]     // convert C to fp16
v_pack_b32_f16 v44, v[vgprValuC+44], v[vgprValuC+45] // Pack with neighbor
v_cvt_f16_f32 v[vgprValuC+46], v[vgprValuC+46]     // convert C to fp16
v_cvt_f16_f32 v[vgprValuC+47], v[vgprValuC+47]     // convert C to fp16
v_pack_b32_f16 v45, v[vgprValuC+46], v[vgprValuC+47] // Pack with neighbor
_buffer_store_b64 v[44:45], v37, s[sgprSrdD:sgprSrdD+3], 0, offen, offset:0,  sc0 sc1 // store D
v_cvt_f16_f32 v[vgprValuC+48], v[vgprValuC+48]     // convert C to fp16
v_cvt_f16_f32 v[vgprValuC+49], v[vgprValuC+49]     // convert C to fp16
v_pack_b32_f16 v48, v[vgprValuC+48], v[vgprValuC+49] // Pack with neighbor
v_cvt_f16_f32 v[vgprValuC+50], v[vgprValuC+50]     // convert C to fp16
v_cvt_f16_f32 v[vgprValuC+51], v[vgprValuC+51]     // convert C to fp16
v_pack_b32_f16 v49, v[vgprValuC+50], v[vgprValuC+51] // Pack with neighbor
_buffer_store_b64 v[48:49], v38, s[sgprSrdD:sgprSrdD+3], 0, offen, offset:0,  sc0 sc1 // store D
v_cvt_f16_f32 v[vgprValuC+52], v[vgprValuC+52]     // convert C to fp16
v_cvt_f16_f32 v[vgprValuC+53], v[vgprValuC+53]     // convert C to fp16
v_pack_b32_f16 v52, v[vgprValuC+52], v[vgprValuC+53] // Pack with neighbor
v_cvt_f16_f32 v[vgprValuC+54], v[vgprValuC+54]     // convert C to fp16
v_cvt_f16_f32 v[vgprValuC+55], v[vgprValuC+55]     // convert C to fp16
v_pack_b32_f16 v53, v[vgprValuC+54], v[vgprValuC+55] // Pack with neighbor
_buffer_store_b64 v[52:53], v39, s[sgprSrdD:sgprSrdD+3], 0, offen, offset:0,  sc0 sc1 // store D
v_cvt_f16_f32 v[vgprValuC+60], v[vgprValuC+60]     // convert C to fp16
v_cvt_f16_f32 v[vgprValuC+61], v[vgprValuC+61]     // convert C to fp16
v_pack_b32_f16 v60, v[vgprValuC+60], v[vgprValuC+61] // Pack with neighbor
v_cvt_f16_f32 v[vgprValuC+62], v[vgprValuC+62]     // convert C to fp16
v_cvt_f16_f32 v[vgprValuC+63], v[vgprValuC+63]     // convert C to fp16
v_pack_b32_f16 v61, v[vgprValuC+62], v[vgprValuC+63] // Pack with neighbor
_buffer_store_b64 v[60:61], v56, s[sgprSrdD:sgprSrdD+3], 0, offen, offset:0,  sc0 sc1 // store D
v_cvt_f16_f32 v[vgprValuC+64], v[vgprValuC+64]     // convert C to fp16
v_cvt_f16_f32 v[vgprValuC+65], v[vgprValuC+65]     // convert C to fp16
v_pack_b32_f16 v64, v[vgprValuC+64], v[vgprValuC+65] // Pack with neighbor
v_cvt_f16_f32 v[vgprValuC+66], v[vgprValuC+66]     // convert C to fp16
v_cvt_f16_f32 v[vgprValuC+67], v[vgprValuC+67]     // convert C to fp16
v_pack_b32_f16 v65, v[vgprValuC+66], v[vgprValuC+67] // Pack with neighbor
_buffer_store_b64 v[64:65], v57, s[sgprSrdD:sgprSrdD+3], 0, offen, offset:0,  sc0 sc1 // store D
v_cvt_f16_f32 v[vgprValuC+68], v[vgprValuC+68]     // convert C to fp16
v_cvt_f16_f32 v[vgprValuC+69], v[vgprValuC+69]     // convert C to fp16
v_pack_b32_f16 v68, v[vgprValuC+68], v[vgprValuC+69] // Pack with neighbor
v_cvt_f16_f32 v[vgprValuC+70], v[vgprValuC+70]     // convert C to fp16
v_cvt_f16_f32 v[vgprValuC+71], v[vgprValuC+71]     // convert C to fp16
v_pack_b32_f16 v69, v[vgprValuC+70], v[vgprValuC+71] // Pack with neighbor
_buffer_store_b64 v[68:69], v58, s[sgprSrdD:sgprSrdD+3], 0, offen, offset:0,  sc0 sc1 // store D
v_cvt_f16_f32 v[vgprValuC+72], v[vgprValuC+72]     // convert C to fp16
v_cvt_f16_f32 v[vgprValuC+73], v[vgprValuC+73]     // convert C to fp16
v_pack_b32_f16 v72, v[vgprValuC+72], v[vgprValuC+73] // Pack with neighbor
v_cvt_f16_f32 v[vgprValuC+74], v[vgprValuC+74]     // convert C to fp16
v_cvt_f16_f32 v[vgprValuC+75], v[vgprValuC+75]     // convert C to fp16
v_pack_b32_f16 v73, v[vgprValuC+74], v[vgprValuC+75] // Pack with neighbor
_buffer_store_b64 v[72:73], v59, s[sgprSrdD:sgprSrdD+3], 0, offen, offset:0,  sc0 sc1 // store D
v_cvt_f16_f32 v[vgprValuC+80], v[vgprValuC+80]     // convert C to fp16
v_cvt_f16_f32 v[vgprValuC+81], v[vgprValuC+81]     // convert C to fp16
v_pack_b32_f16 v80, v[vgprValuC+80], v[vgprValuC+81] // Pack with neighbor
v_cvt_f16_f32 v[vgprValuC+82], v[vgprValuC+82]     // convert C to fp16
v_cvt_f16_f32 v[vgprValuC+83], v[vgprValuC+83]     // convert C to fp16
v_pack_b32_f16 v81, v[vgprValuC+82], v[vgprValuC+83] // Pack with neighbor
_buffer_store_b64 v[80:81], v76, s[sgprSrdD:sgprSrdD+3], 0, offen, offset:0,  sc0 sc1 // store D
v_cvt_f16_f32 v[vgprValuC+84], v[vgprValuC+84]     // convert C to fp16
v_cvt_f16_f32 v[vgprValuC+85], v[vgprValuC+85]     // convert C to fp16
v_pack_b32_f16 v84, v[vgprValuC+84], v[vgprValuC+85] // Pack with neighbor
v_cvt_f16_f32 v[vgprValuC+86], v[vgprValuC+86]     // convert C to fp16
v_cvt_f16_f32 v[vgprValuC+87], v[vgprValuC+87]     // convert C to fp16
v_pack_b32_f16 v85, v[vgprValuC+86], v[vgprValuC+87] // Pack with neighbor
_buffer_store_b64 v[84:85], v77, s[sgprSrdD:sgprSrdD+3], 0, offen, offset:0,  sc0 sc1 // store D
s_nop 0                                            // 1 wait state required when next inst writes vgprs held by previous dwordx4 store inst
s_branch label_GW_End_48                           // jump to end
GW_Beta_49:
s_and_b32 s52, 255, s[sgprSizeI]                   // s52 = s[sgprSizeI] % 256
s_add_u32 s53, -0x1, s[sgprNumWorkGroups0]         // 
s_cmp_ge_u32 s[sgprWorkGroup0], s53                // wg0 >= nwg0-1 ?
s_cselect_b32 s52, s52, 0                          // set rMT0
s_cmpk_gt_u32 s52, 0x0                             // rMT0 > 0
s_cbranch_scc1 GW_B1_E1_47                         // jump if edges required
s_and_b32 s52, 255, s[sgprSizeJ]                   // s52 = s[sgprSizeJ] % 256
s_add_u32 s53, -0x1, s[sgprNumWorkGroups1]         // 
s_cmp_ge_u32 s[sgprWorkGroup1], s53                // wg1 >= nwg1-1
s_cselect_b32 s52, s52, 0                          // set rMT1
s_cmpk_gt_u32 s52, 0x0                             // rMT1 > 0
s_cbranch_scc1 GW_B1_E1_47                         // jump if edges required
GW_B1_E0_44:

/* edge=0, allocate 2 sgpr. perBatchTmpS=2 perBatchMaskS=0 perElementMaskS=0 elementsPerBatch=40 */
/* optSingleColVgpr=1 optSharedColVgpr=0 optSGPRUsage=BufferLoad_Mask optSrdIncForRow=1 */

/******************************************/
/* Global Write Alpha Beta Batch #0 (d1,d0,vc1,vc0) = */
/*    (0,0,0,0:vw4); (0,1,0,0:vw4); (0,0,1,0:vw4); (0,1,1,0:vw4); (0,0,2,0:vw4); (0,1,2,0:vw4); (0,0,3,0:vw4); (0,1,3,0:vw4); (0,0,4,0:vw4); (0,1,4,0:vw4); (0,0,5,0:vw4); (0,1,5,0:vw4); (0,0,6,0:vw4); (0,1,6,0:vw4); (0,0,7,0:vw4); (0,1,7,0:vw4); (0,0,8,0:vw4); (0,1,8,0:vw4); (0,0,9,0:vw4); (0,1,9,0:vw4); (0,0,10,0:vw4); (0,1,10,0:vw4); (0,0,11,0:vw4); (0,1,11,0:vw4); (0,0,12,0:vw4); (0,1,12,0:vw4); (0,0,13,0:vw4); (0,1,13,0:vw4); (0,0,14,0:vw4); (0,1,14,0:vw4); (0,0,15,0:vw4); (0,1,15,0:vw4); (1,0,0,0:vw4); (1,1,0,0:vw4); (1,0,1,0:vw4); (1,1,1,0:vw4); (1,0,2,0:vw4); (1,1,2,0:vw4); (1,0,3,0:vw4); (1,1,3,0:vw4) */
/******************************************/

/* calc coords, apply mask, and issue loads (if necessary) */
/* (d1,vc1,d0,vc0)=(0,0,0,0) */
_v_add_lshl_u32 v7, v2, v0, 0x1                    // optSingleColVgpr scaleToBpe: sharedAddrVgpr <- cinRowPtr + coord0, scaled by BPE. BSHERE:coord0=0, coord0Vgpr=0
_buffer_load_b64 v[8:9], v7, s[sgprSrdC:sgprSrdC+3], 0, offen offset:0,  sc0 sc1 // load C for beta calc
/* (d1,vc1,d0,vc0)=(0,0,1,0) */
_buffer_load_b64 v[10:11], v7, s[sgprSrdC:sgprSrdC+3], 0, offen offset:256,  sc0 sc1 // load C for beta calc
/* (d1,vc1,d0,vc0)=(0,1,0,0) */
s_lshl_b32  s34, s[sgprStrideC1J], 1               // incToNextRow: Scale by BPE
s_add_u32  s[sgprSrdC+0], s[sgprSrdC+0], s34       // incToNextRow: gra SRD += inc(lower)
s_addc_u32  s[sgprSrdC+1], s[sgprSrdC+1], 0        // incToNextRow: gra SRD += inc(upper)
_buffer_load_b64 v[20:21], v7, s[sgprSrdC:sgprSrdC+3], 0, offen offset:0,  sc0 sc1 // load C for beta calc
/* (d1,vc1,d0,vc0)=(0,1,1,0) */
_buffer_load_b64 v[22:23], v7, s[sgprSrdC:sgprSrdC+3], 0, offen offset:256,  sc0 sc1 // load C for beta calc
/* (d1,vc1,d0,vc0)=(0,2,0,0) */
s_lshl_b32  s34, s[sgprStrideC1J], 1               // incToNextRow: Scale by BPE
s_add_u32  s[sgprSrdC+0], s[sgprSrdC+0], s34       // incToNextRow: gra SRD += inc(lower)
s_addc_u32  s[sgprSrdC+1], s[sgprSrdC+1], 0        // incToNextRow: gra SRD += inc(upper)
	;; [unrolled: 7-line block ×15, first 2 shown]
_buffer_load_b64 v[188:189], v7, s[sgprSrdC:sgprSrdC+3], 0, offen offset:0,  sc0 sc1 // load C for beta calc
/* (d1,vc1,d0,vc0)=(0,15,1,0) */
_buffer_load_b64 v[190:191], v7, s[sgprSrdC:sgprSrdC+3], 0, offen offset:256,  sc0 sc1 // load C for beta calc
/* (d1,vc1,d0,vc0)=(1,0,0,0) */
s_mul_i32 s34, s[sgprStrideC1J], 226               // scale StrideC *= numRows(113) * bpe
s_add_u32  s[sgprSrdC+0], s[sgprSrdC+0], s34       // incToNextRow: gra SRD += inc(lower)
s_addc_u32  s[sgprSrdC+1], s[sgprSrdC+1], 0        // incToNextRow: gra SRD += inc(upper)
_buffer_load_b64 v[200:201], v7, s[sgprSrdC:sgprSrdC+3], 0, offen offset:0,  sc0 sc1 // load C for beta calc
/* (d1,vc1,d0,vc0)=(1,0,1,0) */
_buffer_load_b64 v[202:203], v7, s[sgprSrdC:sgprSrdC+3], 0, offen offset:256,  sc0 sc1 // load C for beta calc
/* (d1,vc1,d0,vc0)=(1,1,0,0) */
s_lshl_b32  s34, s[sgprStrideC1J], 1               // incToNextRow: Scale by BPE
s_add_u32  s[sgprSrdC+0], s[sgprSrdC+0], s34       // incToNextRow: gra SRD += inc(lower)
s_addc_u32  s[sgprSrdC+1], s[sgprSrdC+1], 0        // incToNextRow: gra SRD += inc(upper)
_buffer_load_b64 v[212:213], v7, s[sgprSrdC:sgprSrdC+3], 0, offen offset:0,  sc0 sc1 // load C for beta calc
/* (d1,vc1,d0,vc0)=(1,1,1,0) */
_buffer_load_b64 v[214:215], v7, s[sgprSrdC:sgprSrdC+3], 0, offen offset:256,  sc0 sc1 // load C for beta calc
/* (d1,vc1,d0,vc0)=(1,2,0,0) */
s_lshl_b32  s34, s[sgprStrideC1J], 1               // incToNextRow: Scale by BPE
	;; [unrolled: 7-line block ×3, first 2 shown]
s_add_u32  s[sgprSrdC+0], s[sgprSrdC+0], s34       // incToNextRow: gra SRD += inc(lower)
s_addc_u32  s[sgprSrdC+1], s[sgprSrdC+1], 0        // incToNextRow: gra SRD += inc(upper)
_buffer_load_b64 v[240:241], v7, s[sgprSrdC:sgprSrdC+3], 0, offen offset:0,  sc0 sc1 // load C for beta calc
/* (d1,vc1,d0,vc0)=(1,3,1,0) */
_buffer_load_b64 v[242:243], v7, s[sgprSrdC:sgprSrdC+3], 0, offen offset:256,  sc0 sc1 // load C for beta calc
_v_add_lshl_u32 v6, v3, v0, 0x1                    // optSingleColVgpr scaleToBpe: sharedAddrVgpr <- cinRowPtr + coord0, scaled by BPE. BSHERE:coord0=0, coord0Vgpr=0
v_accvgpr_read_b32 v[vgprValuC+12], acc0 // copy acc to vreg[0]
v_accvgpr_read_b32 v[vgprValuC+13], acc4 // copy acc to vreg[1]
v_accvgpr_read_b32 v[vgprValuC+14], acc8 // copy acc to vreg[2]
v_accvgpr_read_b32 v[vgprValuC+15], acc12 // copy acc to vreg[3]
v_accvgpr_read_b32 v[vgprValuC+16], acc16 // copy acc to vreg[4]
v_accvgpr_read_b32 v[vgprValuC+17], acc20 // copy acc to vreg[5]
v_accvgpr_read_b32 v[vgprValuC+18], acc24 // copy acc to vreg[6]
v_accvgpr_read_b32 v[vgprValuC+19], acc28 // copy acc to vreg[7]
v_accvgpr_read_b32 v[vgprValuC+24], acc32 // copy acc to vreg[8]
v_accvgpr_read_b32 v[vgprValuC+25], acc36 // copy acc to vreg[9]
v_accvgpr_read_b32 v[vgprValuC+26], acc40 // copy acc to vreg[10]
v_accvgpr_read_b32 v[vgprValuC+27], acc44 // copy acc to vreg[11]
v_accvgpr_read_b32 v[vgprValuC+28], acc48 // copy acc to vreg[12]
v_accvgpr_read_b32 v[vgprValuC+29], acc52 // copy acc to vreg[13]
v_accvgpr_read_b32 v[vgprValuC+30], acc56 // copy acc to vreg[14]
v_accvgpr_read_b32 v[vgprValuC+31], acc60 // copy acc to vreg[15]
v_accvgpr_read_b32 v[vgprValuC+36], acc64 // copy acc to vreg[16]
v_accvgpr_read_b32 v[vgprValuC+37], acc68 // copy acc to vreg[17]
v_accvgpr_read_b32 v[vgprValuC+38], acc72 // copy acc to vreg[18]
v_accvgpr_read_b32 v[vgprValuC+39], acc76 // copy acc to vreg[19]
v_accvgpr_read_b32 v[vgprValuC+40], acc80 // copy acc to vreg[20]
v_accvgpr_read_b32 v[vgprValuC+41], acc84 // copy acc to vreg[21]
v_accvgpr_read_b32 v[vgprValuC+42], acc88 // copy acc to vreg[22]
v_accvgpr_read_b32 v[vgprValuC+43], acc92 // copy acc to vreg[23]
v_accvgpr_read_b32 v[vgprValuC+48], acc96 // copy acc to vreg[24]
v_accvgpr_read_b32 v[vgprValuC+49], acc100 // copy acc to vreg[25]
v_accvgpr_read_b32 v[vgprValuC+50], acc104 // copy acc to vreg[26]
v_accvgpr_read_b32 v[vgprValuC+51], acc108 // copy acc to vreg[27]
v_accvgpr_read_b32 v[vgprValuC+52], acc112 // copy acc to vreg[28]
v_accvgpr_read_b32 v[vgprValuC+53], acc116 // copy acc to vreg[29]
v_accvgpr_read_b32 v[vgprValuC+54], acc120 // copy acc to vreg[30]
v_accvgpr_read_b32 v[vgprValuC+55], acc124 // copy acc to vreg[31]
v_accvgpr_read_b32 v[vgprValuC+60], acc1 // copy acc to vreg[32]
v_accvgpr_read_b32 v[vgprValuC+61], acc5 // copy acc to vreg[33]
v_accvgpr_read_b32 v[vgprValuC+62], acc9 // copy acc to vreg[34]
v_accvgpr_read_b32 v[vgprValuC+63], acc13 // copy acc to vreg[35]
v_accvgpr_read_b32 v[vgprValuC+64], acc17 // copy acc to vreg[36]
v_accvgpr_read_b32 v[vgprValuC+65], acc21 // copy acc to vreg[37]
v_accvgpr_read_b32 v[vgprValuC+66], acc25 // copy acc to vreg[38]
v_accvgpr_read_b32 v[vgprValuC+67], acc29 // copy acc to vreg[39]
v_accvgpr_read_b32 v[vgprValuC+72], acc33 // copy acc to vreg[40]
v_accvgpr_read_b32 v[vgprValuC+73], acc37 // copy acc to vreg[41]
v_accvgpr_read_b32 v[vgprValuC+74], acc41 // copy acc to vreg[42]
v_accvgpr_read_b32 v[vgprValuC+75], acc45 // copy acc to vreg[43]
v_accvgpr_read_b32 v[vgprValuC+76], acc49 // copy acc to vreg[44]
v_accvgpr_read_b32 v[vgprValuC+77], acc53 // copy acc to vreg[45]
v_accvgpr_read_b32 v[vgprValuC+78], acc57 // copy acc to vreg[46]
v_accvgpr_read_b32 v[vgprValuC+79], acc61 // copy acc to vreg[47]
v_accvgpr_read_b32 v[vgprValuC+84], acc65 // copy acc to vreg[48]
v_accvgpr_read_b32 v[vgprValuC+85], acc69 // copy acc to vreg[49]
v_accvgpr_read_b32 v[vgprValuC+86], acc73 // copy acc to vreg[50]
v_accvgpr_read_b32 v[vgprValuC+87], acc77 // copy acc to vreg[51]
v_accvgpr_read_b32 v[vgprValuC+88], acc81 // copy acc to vreg[52]
v_accvgpr_read_b32 v[vgprValuC+89], acc85 // copy acc to vreg[53]
v_accvgpr_read_b32 v[vgprValuC+90], acc89 // copy acc to vreg[54]
v_accvgpr_read_b32 v[vgprValuC+91], acc93 // copy acc to vreg[55]
v_accvgpr_read_b32 v[vgprValuC+96], acc97 // copy acc to vreg[56]
v_accvgpr_read_b32 v[vgprValuC+97], acc101 // copy acc to vreg[57]
v_accvgpr_read_b32 v[vgprValuC+98], acc105 // copy acc to vreg[58]
v_accvgpr_read_b32 v[vgprValuC+99], acc109 // copy acc to vreg[59]
v_accvgpr_read_b32 v[vgprValuC+100], acc113 // copy acc to vreg[60]
v_accvgpr_read_b32 v[vgprValuC+101], acc117 // copy acc to vreg[61]
v_accvgpr_read_b32 v[vgprValuC+102], acc121 // copy acc to vreg[62]
v_accvgpr_read_b32 v[vgprValuC+103], acc125 // copy acc to vreg[63]
v_accvgpr_read_b32 v[vgprValuC+108], acc2 // copy acc to vreg[64]
v_accvgpr_read_b32 v[vgprValuC+109], acc6 // copy acc to vreg[65]
v_accvgpr_read_b32 v[vgprValuC+110], acc10 // copy acc to vreg[66]
v_accvgpr_read_b32 v[vgprValuC+111], acc14 // copy acc to vreg[67]
v_accvgpr_read_b32 v[vgprValuC+112], acc18 // copy acc to vreg[68]
v_accvgpr_read_b32 v[vgprValuC+113], acc22 // copy acc to vreg[69]
v_accvgpr_read_b32 v[vgprValuC+114], acc26 // copy acc to vreg[70]
v_accvgpr_read_b32 v[vgprValuC+115], acc30 // copy acc to vreg[71]
v_accvgpr_read_b32 v[vgprValuC+120], acc34 // copy acc to vreg[72]
v_accvgpr_read_b32 v[vgprValuC+121], acc38 // copy acc to vreg[73]
v_accvgpr_read_b32 v[vgprValuC+122], acc42 // copy acc to vreg[74]
v_accvgpr_read_b32 v[vgprValuC+123], acc46 // copy acc to vreg[75]
v_accvgpr_read_b32 v[vgprValuC+124], acc50 // copy acc to vreg[76]
v_accvgpr_read_b32 v[vgprValuC+125], acc54 // copy acc to vreg[77]
v_accvgpr_read_b32 v[vgprValuC+126], acc58 // copy acc to vreg[78]
v_accvgpr_read_b32 v[vgprValuC+127], acc62 // copy acc to vreg[79]
v_accvgpr_read_b32 v[vgprValuC+132], acc66 // copy acc to vreg[80]
v_accvgpr_read_b32 v[vgprValuC+133], acc70 // copy acc to vreg[81]
v_accvgpr_read_b32 v[vgprValuC+134], acc74 // copy acc to vreg[82]
v_accvgpr_read_b32 v[vgprValuC+135], acc78 // copy acc to vreg[83]
v_accvgpr_read_b32 v[vgprValuC+136], acc82 // copy acc to vreg[84]
v_accvgpr_read_b32 v[vgprValuC+137], acc86 // copy acc to vreg[85]
v_accvgpr_read_b32 v[vgprValuC+138], acc90 // copy acc to vreg[86]
v_accvgpr_read_b32 v[vgprValuC+139], acc94 // copy acc to vreg[87]
v_accvgpr_read_b32 v[vgprValuC+144], acc98 // copy acc to vreg[88]
v_accvgpr_read_b32 v[vgprValuC+145], acc102 // copy acc to vreg[89]
v_accvgpr_read_b32 v[vgprValuC+146], acc106 // copy acc to vreg[90]
v_accvgpr_read_b32 v[vgprValuC+147], acc110 // copy acc to vreg[91]
v_accvgpr_read_b32 v[vgprValuC+148], acc114 // copy acc to vreg[92]
v_accvgpr_read_b32 v[vgprValuC+149], acc118 // copy acc to vreg[93]
v_accvgpr_read_b32 v[vgprValuC+150], acc122 // copy acc to vreg[94]
v_accvgpr_read_b32 v[vgprValuC+151], acc126 // copy acc to vreg[95]
v_accvgpr_read_b32 v[vgprValuC+156], acc3 // copy acc to vreg[96]
v_accvgpr_read_b32 v[vgprValuC+157], acc7 // copy acc to vreg[97]
v_accvgpr_read_b32 v[vgprValuC+158], acc11 // copy acc to vreg[98]
v_accvgpr_read_b32 v[vgprValuC+159], acc15 // copy acc to vreg[99]
v_accvgpr_read_b32 v[vgprValuC+160], acc19 // copy acc to vreg[100]
v_accvgpr_read_b32 v[vgprValuC+161], acc23 // copy acc to vreg[101]
v_accvgpr_read_b32 v[vgprValuC+162], acc27 // copy acc to vreg[102]
v_accvgpr_read_b32 v[vgprValuC+163], acc31 // copy acc to vreg[103]
v_accvgpr_read_b32 v[vgprValuC+168], acc35 // copy acc to vreg[104]
v_accvgpr_read_b32 v[vgprValuC+169], acc39 // copy acc to vreg[105]
v_accvgpr_read_b32 v[vgprValuC+170], acc43 // copy acc to vreg[106]
v_accvgpr_read_b32 v[vgprValuC+171], acc47 // copy acc to vreg[107]
v_accvgpr_read_b32 v[vgprValuC+172], acc51 // copy acc to vreg[108]
v_accvgpr_read_b32 v[vgprValuC+173], acc55 // copy acc to vreg[109]
v_accvgpr_read_b32 v[vgprValuC+174], acc59 // copy acc to vreg[110]
v_accvgpr_read_b32 v[vgprValuC+175], acc63 // copy acc to vreg[111]
v_accvgpr_read_b32 v[vgprValuC+180], acc67 // copy acc to vreg[112]
v_accvgpr_read_b32 v[vgprValuC+181], acc71 // copy acc to vreg[113]
v_accvgpr_read_b32 v[vgprValuC+182], acc75 // copy acc to vreg[114]
v_accvgpr_read_b32 v[vgprValuC+183], acc79 // copy acc to vreg[115]
v_accvgpr_read_b32 v[vgprValuC+184], acc83 // copy acc to vreg[116]
v_accvgpr_read_b32 v[vgprValuC+185], acc87 // copy acc to vreg[117]
v_accvgpr_read_b32 v[vgprValuC+186], acc91 // copy acc to vreg[118]
v_accvgpr_read_b32 v[vgprValuC+187], acc95 // copy acc to vreg[119]
v_accvgpr_read_b32 v[vgprValuC+192], acc99 // copy acc to vreg[120]
v_accvgpr_read_b32 v[vgprValuC+193], acc103 // copy acc to vreg[121]
v_accvgpr_read_b32 v[vgprValuC+194], acc107 // copy acc to vreg[122]
v_accvgpr_read_b32 v[vgprValuC+195], acc111 // copy acc to vreg[123]
v_accvgpr_read_b32 v[vgprValuC+196], acc115 // copy acc to vreg[124]
v_accvgpr_read_b32 v[vgprValuC+197], acc119 // copy acc to vreg[125]
v_accvgpr_read_b32 v[vgprValuC+198], acc123 // copy acc to vreg[126]
v_accvgpr_read_b32 v[vgprValuC+199], acc127 // copy acc to vreg[127]
v_accvgpr_read_b32 v[vgprValuC+204], acc128 // copy acc to vreg[128]
v_accvgpr_read_b32 v[vgprValuC+205], acc132 // copy acc to vreg[129]
v_accvgpr_read_b32 v[vgprValuC+206], acc136 // copy acc to vreg[130]
v_accvgpr_read_b32 v[vgprValuC+207], acc140 // copy acc to vreg[131]
v_accvgpr_read_b32 v[vgprValuC+208], acc144 // copy acc to vreg[132]
v_accvgpr_read_b32 v[vgprValuC+209], acc148 // copy acc to vreg[133]
v_accvgpr_read_b32 v[vgprValuC+210], acc152 // copy acc to vreg[134]
v_accvgpr_read_b32 v[vgprValuC+211], acc156 // copy acc to vreg[135]
v_accvgpr_read_b32 v[vgprValuC+216], acc160 // copy acc to vreg[136]
v_accvgpr_read_b32 v[vgprValuC+217], acc164 // copy acc to vreg[137]
v_accvgpr_read_b32 v[vgprValuC+218], acc168 // copy acc to vreg[138]
v_accvgpr_read_b32 v[vgprValuC+219], acc172 // copy acc to vreg[139]
v_accvgpr_read_b32 v[vgprValuC+220], acc176 // copy acc to vreg[140]
v_accvgpr_read_b32 v[vgprValuC+221], acc180 // copy acc to vreg[141]
v_accvgpr_read_b32 v[vgprValuC+222], acc184 // copy acc to vreg[142]
v_accvgpr_read_b32 v[vgprValuC+223], acc188 // copy acc to vreg[143]
v_accvgpr_read_b32 v[vgprValuC+232], acc192 // copy acc to vreg[144]
v_accvgpr_read_b32 v[vgprValuC+233], acc196 // copy acc to vreg[145]
v_accvgpr_read_b32 v[vgprValuC+234], acc200 // copy acc to vreg[146]
v_accvgpr_read_b32 v[vgprValuC+235], acc204 // copy acc to vreg[147]
v_accvgpr_read_b32 v[vgprValuC+236], acc208 // copy acc to vreg[148]
v_accvgpr_read_b32 v[vgprValuC+237], acc212 // copy acc to vreg[149]
v_accvgpr_read_b32 v[vgprValuC+238], acc216 // copy acc to vreg[150]
v_accvgpr_read_b32 v[vgprValuC+239], acc220 // copy acc to vreg[151]
v_accvgpr_read_b32 v[vgprValuC+244], acc224 // copy acc to vreg[152]
v_accvgpr_read_b32 v[vgprValuC+245], acc228 // copy acc to vreg[153]
v_accvgpr_read_b32 v[vgprValuC+246], acc232 // copy acc to vreg[154]
v_accvgpr_read_b32 v[vgprValuC+247], acc236 // copy acc to vreg[155]
v_accvgpr_read_b32 v[vgprValuC+248], acc240 // copy acc to vreg[156]
v_accvgpr_read_b32 v[vgprValuC+249], acc244 // copy acc to vreg[157]
v_accvgpr_read_b32 v[vgprValuC+250], acc248 // copy acc to vreg[158]
v_accvgpr_read_b32 v[vgprValuC+251], acc252 // copy acc to vreg[159]
s_nop 1                                            // 2 wait states required before reading vgpr

/* rC *= alpha batchElements=[(0, 0, 0, 0), (0, 1, 0, 0), (0, 0, 1, 0), (0, 1, 1, 0), (0, 0, 2, 0), (0, 1, 2, 0), (0, 0, 3, 0), (0, 1, 3, 0), (0, 0, 4, 0), (0, 1, 4, 0), (0, 0, 5, 0), (0, 1, 5, 0), (0, 0, 6, 0), (0, 1, 6, 0), (0, 0, 7, 0), (0, 1, 7, 0), (0, 0, 8, 0), (0, 1, 8, 0), (0, 0, 9, 0), (0, 1, 9, 0), (0, 0, 10, 0), (0, 1, 10, 0), (0, 0, 11, 0), (0, 1, 11, 0), (0, 0, 12, 0), (0, 1, 12, 0), (0, 0, 13, 0), (0, 1, 13, 0), (0, 0, 14, 0), (0, 1, 14, 0), (0, 0, 15, 0), (0, 1, 15, 0), (1, 0, 0, 0), (1, 1, 0, 0), (1, 0, 1, 0), (1, 1, 1, 0), (1, 0, 2, 0), (1, 1, 2, 0), (1, 0, 3, 0), (1, 1, 3, 0)] */
v_mul_f32 v[vgprValuC+12], s[sgprAlpha], v[vgprValuC+12] // *= alpha
v_mul_f32 v[vgprValuC+13], s[sgprAlpha], v[vgprValuC+13] // *= alpha
	;; [unrolled: 1-line block ×160, first 2 shown]

/* apply mask, calc new C and issue writes */

s_waitcnt vmcnt(39)                                // wait C (interleaved) 39 = 40 - 0 + 0 - 1
v_fma_mix_f32 v[vgprValuC+12], s[sgprBeta], v8, v[vgprValuC+12], op_sel:[0,0,0] op_sel_hi:[0,1,0] // //C*=beta
v_fma_mix_f32 v[vgprValuC+13], s[sgprBeta], v8, v[vgprValuC+13], op_sel:[0,1,0] op_sel_hi:[0,1,0] // //C*=beta
	;; [unrolled: 1-line block ×4, first 2 shown]
v_cvt_f16_f32 v[vgprValuC+12], v[vgprValuC+12]     // convert C to fp16
v_cvt_f16_f32 v[vgprValuC+13], v[vgprValuC+13]     // convert C to fp16
v_pack_b32_f16 v12, v[vgprValuC+12], v[vgprValuC+13] // Pack with neighbor
v_cvt_f16_f32 v[vgprValuC+14], v[vgprValuC+14]     // convert C to fp16
v_cvt_f16_f32 v[vgprValuC+15], v[vgprValuC+15]     // convert C to fp16
v_pack_b32_f16 v13, v[vgprValuC+14], v[vgprValuC+15] // Pack with neighbor
_buffer_store_b64 v[12:13], v6, s[sgprSrdD:sgprSrdD+3], 0, offen, offset:0,  sc0 sc1 // store D

s_waitcnt vmcnt(39)                                // wait C (interleaved) 39 = 40 - 1 + 1 - 1
v_fma_mix_f32 v[vgprValuC+16], s[sgprBeta], v10, v[vgprValuC+16], op_sel:[0,0,0] op_sel_hi:[0,1,0] // //C*=beta
v_fma_mix_f32 v[vgprValuC+17], s[sgprBeta], v10, v[vgprValuC+17], op_sel:[0,1,0] op_sel_hi:[0,1,0] // //C*=beta
v_fma_mix_f32 v[vgprValuC+18], s[sgprBeta], v11, v[vgprValuC+18], op_sel:[0,0,0] op_sel_hi:[0,1,0] // //C*=beta
v_fma_mix_f32 v[vgprValuC+19], s[sgprBeta], v11, v[vgprValuC+19], op_sel:[0,1,0] op_sel_hi:[0,1,0] // //C*=beta
v_cvt_f16_f32 v[vgprValuC+16], v[vgprValuC+16]     // convert C to fp16
v_cvt_f16_f32 v[vgprValuC+17], v[vgprValuC+17]     // convert C to fp16
v_pack_b32_f16 v16, v[vgprValuC+16], v[vgprValuC+17] // Pack with neighbor
v_cvt_f16_f32 v[vgprValuC+18], v[vgprValuC+18]     // convert C to fp16
v_cvt_f16_f32 v[vgprValuC+19], v[vgprValuC+19]     // convert C to fp16
v_pack_b32_f16 v17, v[vgprValuC+18], v[vgprValuC+19] // Pack with neighbor
_buffer_store_b64 v[16:17], v6, s[sgprSrdD:sgprSrdD+3], 0, offen, offset:256,  sc0 sc1 // store D

s_waitcnt vmcnt(39)                                // wait C (interleaved) 39 = 40 - 2 + 2 - 1
v_fma_mix_f32 v[vgprValuC+24], s[sgprBeta], v20, v[vgprValuC+24], op_sel:[0,0,0] op_sel_hi:[0,1,0] // //C*=beta
v_fma_mix_f32 v[vgprValuC+25], s[sgprBeta], v20, v[vgprValuC+25], op_sel:[0,1,0] op_sel_hi:[0,1,0] // //C*=beta
v_fma_mix_f32 v[vgprValuC+26], s[sgprBeta], v21, v[vgprValuC+26], op_sel:[0,0,0] op_sel_hi:[0,1,0] // //C*=beta
v_fma_mix_f32 v[vgprValuC+27], s[sgprBeta], v21, v[vgprValuC+27], op_sel:[0,1,0] op_sel_hi:[0,1,0] // //C*=beta
v_cvt_f16_f32 v[vgprValuC+24], v[vgprValuC+24]     // convert C to fp16
v_cvt_f16_f32 v[vgprValuC+25], v[vgprValuC+25]     // convert C to fp16
v_pack_b32_f16 v24, v[vgprValuC+24], v[vgprValuC+25] // Pack with neighbor
v_cvt_f16_f32 v[vgprValuC+26], v[vgprValuC+26]     // convert C to fp16
v_cvt_f16_f32 v[vgprValuC+27], v[vgprValuC+27]     // convert C to fp16
v_pack_b32_f16 v25, v[vgprValuC+26], v[vgprValuC+27] // Pack with neighbor
s_lshl_b32  s34, s[sgprStrideD1J], 1               // incToNextRow: Scale by BPE
s_add_u32  s[sgprSrdD+0], s[sgprSrdD+0], s34       // incToNextRow: gra SRD += inc(lower)
s_addc_u32  s[sgprSrdD+1], s[sgprSrdD+1], 0        // incToNextRow: gra SRD += inc(upper)
_buffer_store_b64 v[24:25], v6, s[sgprSrdD:sgprSrdD+3], 0, offen, offset:0,  sc0 sc1 // store D

s_waitcnt vmcnt(39)                                // wait C (interleaved) 39 = 40 - 3 + 3 - 1
v_fma_mix_f32 v[vgprValuC+28], s[sgprBeta], v22, v[vgprValuC+28], op_sel:[0,0,0] op_sel_hi:[0,1,0] // //C*=beta
v_fma_mix_f32 v[vgprValuC+29], s[sgprBeta], v22, v[vgprValuC+29], op_sel:[0,1,0] op_sel_hi:[0,1,0] // //C*=beta
v_fma_mix_f32 v[vgprValuC+30], s[sgprBeta], v23, v[vgprValuC+30], op_sel:[0,0,0] op_sel_hi:[0,1,0] // //C*=beta
v_fma_mix_f32 v[vgprValuC+31], s[sgprBeta], v23, v[vgprValuC+31], op_sel:[0,1,0] op_sel_hi:[0,1,0] // //C*=beta
v_cvt_f16_f32 v[vgprValuC+28], v[vgprValuC+28]     // convert C to fp16
v_cvt_f16_f32 v[vgprValuC+29], v[vgprValuC+29]     // convert C to fp16
v_pack_b32_f16 v28, v[vgprValuC+28], v[vgprValuC+29] // Pack with neighbor
v_cvt_f16_f32 v[vgprValuC+30], v[vgprValuC+30]     // convert C to fp16
v_cvt_f16_f32 v[vgprValuC+31], v[vgprValuC+31]     // convert C to fp16
v_pack_b32_f16 v29, v[vgprValuC+30], v[vgprValuC+31] // Pack with neighbor
_buffer_store_b64 v[28:29], v6, s[sgprSrdD:sgprSrdD+3], 0, offen, offset:256,  sc0 sc1 // store D

s_waitcnt vmcnt(39)                                // wait C (interleaved) 39 = 40 - 4 + 4 - 1
v_fma_mix_f32 v[vgprValuC+36], s[sgprBeta], v32, v[vgprValuC+36], op_sel:[0,0,0] op_sel_hi:[0,1,0] // //C*=beta
v_fma_mix_f32 v[vgprValuC+37], s[sgprBeta], v32, v[vgprValuC+37], op_sel:[0,1,0] op_sel_hi:[0,1,0] // //C*=beta
v_fma_mix_f32 v[vgprValuC+38], s[sgprBeta], v33, v[vgprValuC+38], op_sel:[0,0,0] op_sel_hi:[0,1,0] // //C*=beta
v_fma_mix_f32 v[vgprValuC+39], s[sgprBeta], v33, v[vgprValuC+39], op_sel:[0,1,0] op_sel_hi:[0,1,0] // //C*=beta
v_cvt_f16_f32 v[vgprValuC+36], v[vgprValuC+36]     // convert C to fp16
v_cvt_f16_f32 v[vgprValuC+37], v[vgprValuC+37]     // convert C to fp16
v_pack_b32_f16 v36, v[vgprValuC+36], v[vgprValuC+37] // Pack with neighbor
v_cvt_f16_f32 v[vgprValuC+38], v[vgprValuC+38]     // convert C to fp16
v_cvt_f16_f32 v[vgprValuC+39], v[vgprValuC+39]     // convert C to fp16
v_pack_b32_f16 v37, v[vgprValuC+38], v[vgprValuC+39] // Pack with neighbor
s_lshl_b32  s34, s[sgprStrideD1J], 1               // incToNextRow: Scale by BPE
s_add_u32  s[sgprSrdD+0], s[sgprSrdD+0], s34       // incToNextRow: gra SRD += inc(lower)
s_addc_u32  s[sgprSrdD+1], s[sgprSrdD+1], 0        // incToNextRow: gra SRD += inc(upper)
	;; [unrolled: 29-line block ×7, first 2 shown]
_buffer_store_b64 v[96:97], v6, s[sgprSrdD:sgprSrdD+3], 0, offen, offset:0,  sc0 sc1 // store D

s_waitcnt vmcnt(39)                                // wait C (interleaved) 39 = 40 - 15 + 15 - 1
v_fma_mix_f32 v[vgprValuC+100], s[sgprBeta], v94, v[vgprValuC+100], op_sel:[0,0,0] op_sel_hi:[0,1,0] // //C*=beta
v_fma_mix_f32 v[vgprValuC+101], s[sgprBeta], v94, v[vgprValuC+101], op_sel:[0,1,0] op_sel_hi:[0,1,0] // //C*=beta
v_fma_mix_f32 v[vgprValuC+102], s[sgprBeta], v95, v[vgprValuC+102], op_sel:[0,0,0] op_sel_hi:[0,1,0] // //C*=beta
v_fma_mix_f32 v[vgprValuC+103], s[sgprBeta], v95, v[vgprValuC+103], op_sel:[0,1,0] op_sel_hi:[0,1,0] // //C*=beta
v_cvt_f16_f32 v[vgprValuC+100], v[vgprValuC+100]   // convert C to fp16
v_cvt_f16_f32 v[vgprValuC+101], v[vgprValuC+101]   // convert C to fp16
v_pack_b32_f16 v100, v[vgprValuC+100], v[vgprValuC+101] // Pack with neighbor
v_cvt_f16_f32 v[vgprValuC+102], v[vgprValuC+102]   // convert C to fp16
v_cvt_f16_f32 v[vgprValuC+103], v[vgprValuC+103]   // convert C to fp16
v_pack_b32_f16 v101, v[vgprValuC+102], v[vgprValuC+103] // Pack with neighbor
_buffer_store_b64 v[100:101], v6, s[sgprSrdD:sgprSrdD+3], 0, offen, offset:256,  sc0 sc1 // store D

s_waitcnt vmcnt(39)                                // wait C (interleaved) 39 = 40 - 16 + 16 - 1
v_fma_mix_f32 v[vgprValuC+108], s[sgprBeta], v104, v[vgprValuC+108], op_sel:[0,0,0] op_sel_hi:[0,1,0] // //C*=beta
v_fma_mix_f32 v[vgprValuC+109], s[sgprBeta], v104, v[vgprValuC+109], op_sel:[0,1,0] op_sel_hi:[0,1,0] // //C*=beta
v_fma_mix_f32 v[vgprValuC+110], s[sgprBeta], v105, v[vgprValuC+110], op_sel:[0,0,0] op_sel_hi:[0,1,0] // //C*=beta
v_fma_mix_f32 v[vgprValuC+111], s[sgprBeta], v105, v[vgprValuC+111], op_sel:[0,1,0] op_sel_hi:[0,1,0] // //C*=beta
v_cvt_f16_f32 v[vgprValuC+108], v[vgprValuC+108]   // convert C to fp16
v_cvt_f16_f32 v[vgprValuC+109], v[vgprValuC+109]   // convert C to fp16
v_pack_b32_f16 v108, v[vgprValuC+108], v[vgprValuC+109] // Pack with neighbor
v_cvt_f16_f32 v[vgprValuC+110], v[vgprValuC+110]   // convert C to fp16
v_cvt_f16_f32 v[vgprValuC+111], v[vgprValuC+111]   // convert C to fp16
v_pack_b32_f16 v109, v[vgprValuC+110], v[vgprValuC+111] // Pack with neighbor
s_lshl_b32  s34, s[sgprStrideD1J], 1               // incToNextRow: Scale by BPE
s_add_u32  s[sgprSrdD+0], s[sgprSrdD+0], s34       // incToNextRow: gra SRD += inc(lower)
s_addc_u32  s[sgprSrdD+1], s[sgprSrdD+1], 0        // incToNextRow: gra SRD += inc(upper)
_buffer_store_b64 v[108:109], v6, s[sgprSrdD:sgprSrdD+3], 0, offen, offset:0,  sc0 sc1 // store D

s_waitcnt vmcnt(39)                                // wait C (interleaved) 39 = 40 - 17 + 17 - 1
v_fma_mix_f32 v[vgprValuC+112], s[sgprBeta], v106, v[vgprValuC+112], op_sel:[0,0,0] op_sel_hi:[0,1,0] // //C*=beta
v_fma_mix_f32 v[vgprValuC+113], s[sgprBeta], v106, v[vgprValuC+113], op_sel:[0,1,0] op_sel_hi:[0,1,0] // //C*=beta
v_fma_mix_f32 v[vgprValuC+114], s[sgprBeta], v107, v[vgprValuC+114], op_sel:[0,0,0] op_sel_hi:[0,1,0] // //C*=beta
v_fma_mix_f32 v[vgprValuC+115], s[sgprBeta], v107, v[vgprValuC+115], op_sel:[0,1,0] op_sel_hi:[0,1,0] // //C*=beta
v_cvt_f16_f32 v[vgprValuC+112], v[vgprValuC+112]   // convert C to fp16
v_cvt_f16_f32 v[vgprValuC+113], v[vgprValuC+113]   // convert C to fp16
v_pack_b32_f16 v112, v[vgprValuC+112], v[vgprValuC+113] // Pack with neighbor
v_cvt_f16_f32 v[vgprValuC+114], v[vgprValuC+114]   // convert C to fp16
v_cvt_f16_f32 v[vgprValuC+115], v[vgprValuC+115]   // convert C to fp16
v_pack_b32_f16 v113, v[vgprValuC+114], v[vgprValuC+115] // Pack with neighbor
_buffer_store_b64 v[112:113], v6, s[sgprSrdD:sgprSrdD+3], 0, offen, offset:256,  sc0 sc1 // store D

s_waitcnt vmcnt(39)                                // wait C (interleaved) 39 = 40 - 18 + 18 - 1
v_fma_mix_f32 v[vgprValuC+120], s[sgprBeta], v116, v[vgprValuC+120], op_sel:[0,0,0] op_sel_hi:[0,1,0] // //C*=beta
v_fma_mix_f32 v[vgprValuC+121], s[sgprBeta], v116, v[vgprValuC+121], op_sel:[0,1,0] op_sel_hi:[0,1,0] // //C*=beta
v_fma_mix_f32 v[vgprValuC+122], s[sgprBeta], v117, v[vgprValuC+122], op_sel:[0,0,0] op_sel_hi:[0,1,0] // //C*=beta
v_fma_mix_f32 v[vgprValuC+123], s[sgprBeta], v117, v[vgprValuC+123], op_sel:[0,1,0] op_sel_hi:[0,1,0] // //C*=beta
v_cvt_f16_f32 v[vgprValuC+120], v[vgprValuC+120]   // convert C to fp16
v_cvt_f16_f32 v[vgprValuC+121], v[vgprValuC+121]   // convert C to fp16
v_pack_b32_f16 v120, v[vgprValuC+120], v[vgprValuC+121] // Pack with neighbor
v_cvt_f16_f32 v[vgprValuC+122], v[vgprValuC+122]   // convert C to fp16
v_cvt_f16_f32 v[vgprValuC+123], v[vgprValuC+123]   // convert C to fp16
v_pack_b32_f16 v121, v[vgprValuC+122], v[vgprValuC+123] // Pack with neighbor
s_lshl_b32  s34, s[sgprStrideD1J], 1               // incToNextRow: Scale by BPE
s_add_u32  s[sgprSrdD+0], s[sgprSrdD+0], s34       // incToNextRow: gra SRD += inc(lower)
s_addc_u32  s[sgprSrdD+1], s[sgprSrdD+1], 0        // incToNextRow: gra SRD += inc(upper)
	;; [unrolled: 29-line block ×8, first 2 shown]
_buffer_store_b64 v[192:193], v6, s[sgprSrdD:sgprSrdD+3], 0, offen, offset:0,  sc0 sc1 // store D

s_waitcnt vmcnt(39)                                // wait C (interleaved) 39 = 40 - 31 + 31 - 1
v_fma_mix_f32 v[vgprValuC+196], s[sgprBeta], v190, v[vgprValuC+196], op_sel:[0,0,0] op_sel_hi:[0,1,0] // //C*=beta
v_fma_mix_f32 v[vgprValuC+197], s[sgprBeta], v190, v[vgprValuC+197], op_sel:[0,1,0] op_sel_hi:[0,1,0] // //C*=beta
	;; [unrolled: 1-line block ×4, first 2 shown]
v_cvt_f16_f32 v[vgprValuC+196], v[vgprValuC+196]   // convert C to fp16
v_cvt_f16_f32 v[vgprValuC+197], v[vgprValuC+197]   // convert C to fp16
v_pack_b32_f16 v196, v[vgprValuC+196], v[vgprValuC+197] // Pack with neighbor
v_cvt_f16_f32 v[vgprValuC+198], v[vgprValuC+198]   // convert C to fp16
v_cvt_f16_f32 v[vgprValuC+199], v[vgprValuC+199]   // convert C to fp16
v_pack_b32_f16 v197, v[vgprValuC+198], v[vgprValuC+199] // Pack with neighbor
_buffer_store_b64 v[196:197], v6, s[sgprSrdD:sgprSrdD+3], 0, offen, offset:256,  sc0 sc1 // store D

s_waitcnt vmcnt(39)                                // wait C (interleaved) 39 = 40 - 32 + 32 - 1
v_fma_mix_f32 v[vgprValuC+204], s[sgprBeta], v200, v[vgprValuC+204], op_sel:[0,0,0] op_sel_hi:[0,1,0] // //C*=beta
v_fma_mix_f32 v[vgprValuC+205], s[sgprBeta], v200, v[vgprValuC+205], op_sel:[0,1,0] op_sel_hi:[0,1,0] // //C*=beta
	;; [unrolled: 1-line block ×4, first 2 shown]
v_cvt_f16_f32 v[vgprValuC+204], v[vgprValuC+204]   // convert C to fp16
v_cvt_f16_f32 v[vgprValuC+205], v[vgprValuC+205]   // convert C to fp16
v_pack_b32_f16 v204, v[vgprValuC+204], v[vgprValuC+205] // Pack with neighbor
v_cvt_f16_f32 v[vgprValuC+206], v[vgprValuC+206]   // convert C to fp16
v_cvt_f16_f32 v[vgprValuC+207], v[vgprValuC+207]   // convert C to fp16
v_pack_b32_f16 v205, v[vgprValuC+206], v[vgprValuC+207] // Pack with neighbor
s_mul_i32 s34, s[sgprStrideD1J], 226               // scale StrideD *= numRows(113) * bpe
s_add_u32  s[sgprSrdD+0], s[sgprSrdD+0], s34       // incToNextRow: gra SRD += inc(lower)
s_addc_u32  s[sgprSrdD+1], s[sgprSrdD+1], 0        // incToNextRow: gra SRD += inc(upper)
_buffer_store_b64 v[204:205], v6, s[sgprSrdD:sgprSrdD+3], 0, offen, offset:0,  sc0 sc1 // store D

s_waitcnt vmcnt(39)                                // wait C (interleaved) 39 = 40 - 33 + 33 - 1
v_fma_mix_f32 v[vgprValuC+208], s[sgprBeta], v202, v[vgprValuC+208], op_sel:[0,0,0] op_sel_hi:[0,1,0] // //C*=beta
v_fma_mix_f32 v[vgprValuC+209], s[sgprBeta], v202, v[vgprValuC+209], op_sel:[0,1,0] op_sel_hi:[0,1,0] // //C*=beta
v_fma_mix_f32 v[vgprValuC+210], s[sgprBeta], v203, v[vgprValuC+210], op_sel:[0,0,0] op_sel_hi:[0,1,0] // //C*=beta
v_fma_mix_f32 v[vgprValuC+211], s[sgprBeta], v203, v[vgprValuC+211], op_sel:[0,1,0] op_sel_hi:[0,1,0] // //C*=beta
v_cvt_f16_f32 v[vgprValuC+208], v[vgprValuC+208]   // convert C to fp16
v_cvt_f16_f32 v[vgprValuC+209], v[vgprValuC+209]   // convert C to fp16
v_pack_b32_f16 v208, v[vgprValuC+208], v[vgprValuC+209] // Pack with neighbor
v_cvt_f16_f32 v[vgprValuC+210], v[vgprValuC+210]   // convert C to fp16
v_cvt_f16_f32 v[vgprValuC+211], v[vgprValuC+211]   // convert C to fp16
v_pack_b32_f16 v209, v[vgprValuC+210], v[vgprValuC+211] // Pack with neighbor
_buffer_store_b64 v[208:209], v6, s[sgprSrdD:sgprSrdD+3], 0, offen, offset:256,  sc0 sc1 // store D

s_waitcnt vmcnt(39)                                // wait C (interleaved) 39 = 40 - 34 + 34 - 1
v_fma_mix_f32 v[vgprValuC+216], s[sgprBeta], v212, v[vgprValuC+216], op_sel:[0,0,0] op_sel_hi:[0,1,0] // //C*=beta
v_fma_mix_f32 v[vgprValuC+217], s[sgprBeta], v212, v[vgprValuC+217], op_sel:[0,1,0] op_sel_hi:[0,1,0] // //C*=beta
v_fma_mix_f32 v[vgprValuC+218], s[sgprBeta], v213, v[vgprValuC+218], op_sel:[0,0,0] op_sel_hi:[0,1,0] // //C*=beta
v_fma_mix_f32 v[vgprValuC+219], s[sgprBeta], v213, v[vgprValuC+219], op_sel:[0,1,0] op_sel_hi:[0,1,0] // //C*=beta
v_cvt_f16_f32 v[vgprValuC+216], v[vgprValuC+216]   // convert C to fp16
v_cvt_f16_f32 v[vgprValuC+217], v[vgprValuC+217]   // convert C to fp16
v_pack_b32_f16 v216, v[vgprValuC+216], v[vgprValuC+217] // Pack with neighbor
v_cvt_f16_f32 v[vgprValuC+218], v[vgprValuC+218]   // convert C to fp16
v_cvt_f16_f32 v[vgprValuC+219], v[vgprValuC+219]   // convert C to fp16
v_pack_b32_f16 v217, v[vgprValuC+218], v[vgprValuC+219] // Pack with neighbor
s_lshl_b32  s34, s[sgprStrideD1J], 1               // incToNextRow: Scale by BPE
s_add_u32  s[sgprSrdD+0], s[sgprSrdD+0], s34       // incToNextRow: gra SRD += inc(lower)
s_addc_u32  s[sgprSrdD+1], s[sgprSrdD+1], 0        // incToNextRow: gra SRD += inc(upper)
_buffer_store_b64 v[216:217], v6, s[sgprSrdD:sgprSrdD+3], 0, offen, offset:0,  sc0 sc1 // store D

s_waitcnt vmcnt(39)                                // wait C (interleaved) 39 = 40 - 35 + 35 - 1
v_fma_mix_f32 v[vgprValuC+220], s[sgprBeta], v214, v[vgprValuC+220], op_sel:[0,0,0] op_sel_hi:[0,1,0] // //C*=beta
v_fma_mix_f32 v[vgprValuC+221], s[sgprBeta], v214, v[vgprValuC+221], op_sel:[0,1,0] op_sel_hi:[0,1,0] // //C*=beta
v_fma_mix_f32 v[vgprValuC+222], s[sgprBeta], v215, v[vgprValuC+222], op_sel:[0,0,0] op_sel_hi:[0,1,0] // //C*=beta
v_fma_mix_f32 v[vgprValuC+223], s[sgprBeta], v215, v[vgprValuC+223], op_sel:[0,1,0] op_sel_hi:[0,1,0] // //C*=beta
v_cvt_f16_f32 v[vgprValuC+220], v[vgprValuC+220]   // convert C to fp16
v_cvt_f16_f32 v[vgprValuC+221], v[vgprValuC+221]   // convert C to fp16
v_pack_b32_f16 v220, v[vgprValuC+220], v[vgprValuC+221] // Pack with neighbor
v_cvt_f16_f32 v[vgprValuC+222], v[vgprValuC+222]   // convert C to fp16
v_cvt_f16_f32 v[vgprValuC+223], v[vgprValuC+223]   // convert C to fp16
v_pack_b32_f16 v221, v[vgprValuC+222], v[vgprValuC+223] // Pack with neighbor
_buffer_store_b64 v[220:221], v6, s[sgprSrdD:sgprSrdD+3], 0, offen, offset:256,  sc0 sc1 // store D

s_waitcnt vmcnt(39)                                // wait C (interleaved) 39 = 40 - 36 + 36 - 1
v_fma_mix_f32 v[vgprValuC+232], s[sgprBeta], v224, v[vgprValuC+232], op_sel:[0,0,0] op_sel_hi:[0,1,0] // //C*=beta
v_fma_mix_f32 v[vgprValuC+233], s[sgprBeta], v224, v[vgprValuC+233], op_sel:[0,1,0] op_sel_hi:[0,1,0] // //C*=beta
v_fma_mix_f32 v[vgprValuC+234], s[sgprBeta], v225, v[vgprValuC+234], op_sel:[0,0,0] op_sel_hi:[0,1,0] // //C*=beta
v_fma_mix_f32 v[vgprValuC+235], s[sgprBeta], v225, v[vgprValuC+235], op_sel:[0,1,0] op_sel_hi:[0,1,0] // //C*=beta
v_cvt_f16_f32 v[vgprValuC+232], v[vgprValuC+232]   // convert C to fp16
v_cvt_f16_f32 v[vgprValuC+233], v[vgprValuC+233]   // convert C to fp16
v_pack_b32_f16 v232, v[vgprValuC+232], v[vgprValuC+233] // Pack with neighbor
v_cvt_f16_f32 v[vgprValuC+234], v[vgprValuC+234]   // convert C to fp16
v_cvt_f16_f32 v[vgprValuC+235], v[vgprValuC+235]   // convert C to fp16
v_pack_b32_f16 v233, v[vgprValuC+234], v[vgprValuC+235] // Pack with neighbor
s_lshl_b32  s34, s[sgprStrideD1J], 1               // incToNextRow: Scale by BPE
	;; [unrolled: 29-line block ×3, first 2 shown]
s_add_u32  s[sgprSrdD+0], s[sgprSrdD+0], s34       // incToNextRow: gra SRD += inc(lower)
s_addc_u32  s[sgprSrdD+1], s[sgprSrdD+1], 0        // incToNextRow: gra SRD += inc(upper)
_buffer_store_b64 v[244:245], v6, s[sgprSrdD:sgprSrdD+3], 0, offen, offset:0,  sc0 sc1 // store D

s_waitcnt vmcnt(39)                                // wait C (interleaved) 39 = 40 - 39 + 39 - 1
v_fma_mix_f32 v[vgprValuC+248], s[sgprBeta], v242, v[vgprValuC+248], op_sel:[0,0,0] op_sel_hi:[0,1,0] // //C*=beta
v_fma_mix_f32 v[vgprValuC+249], s[sgprBeta], v242, v[vgprValuC+249], op_sel:[0,1,0] op_sel_hi:[0,1,0] // //C*=beta
	;; [unrolled: 1-line block ×4, first 2 shown]
v_cvt_f16_f32 v[vgprValuC+248], v[vgprValuC+248]   // convert C to fp16
v_cvt_f16_f32 v[vgprValuC+249], v[vgprValuC+249]   // convert C to fp16
v_pack_b32_f16 v248, v[vgprValuC+248], v[vgprValuC+249] // Pack with neighbor
v_cvt_f16_f32 v[vgprValuC+250], v[vgprValuC+250]   // convert C to fp16
v_cvt_f16_f32 v[vgprValuC+251], v[vgprValuC+251]   // convert C to fp16
v_pack_b32_f16 v249, v[vgprValuC+250], v[vgprValuC+251] // Pack with neighbor
_buffer_store_b64 v[248:249], v6, s[sgprSrdD:sgprSrdD+3], 0, offen, offset:256,  sc0 sc1 // store D
s_nop 0                                            // 1 wait state required when next inst writes vgprs held by previous dwordx4 store inst
/* optSingleColVgpr=1 optSharedColVgpr=0 optSGPRUsage=BufferLoad_Mask optSrdIncForRow=1 */

/******************************************/
/* Global Write Alpha Beta Batch #1 (d1,d0,vc1,vc0) = */
/*    (1,0,4,0:vw4); (1,1,4,0:vw4); (1,0,5,0:vw4); (1,1,5,0:vw4); (1,0,6,0:vw4); (1,1,6,0:vw4); (1,0,7,0:vw4); (1,1,7,0:vw4); (1,0,8,0:vw4); (1,1,8,0:vw4); (1,0,9,0:vw4); (1,1,9,0:vw4); (1,0,10,0:vw4); (1,1,10,0:vw4); (1,0,11,0:vw4); (1,1,11,0:vw4); (1,0,12,0:vw4); (1,1,12,0:vw4); (1,0,13,0:vw4); (1,1,13,0:vw4); (1,0,14,0:vw4); (1,1,14,0:vw4); (1,0,15,0:vw4); (1,1,15,0:vw4) */
/******************************************/

/* calc coords, apply mask, and issue loads (if necessary) */
/* (d1,vc1,d0,vc0)=(1,4,0,0) */
s_lshl_b32  s34, s[sgprStrideC1J], 1               // incToNextRow: Scale by BPE
s_add_u32  s[sgprSrdC+0], s[sgprSrdC+0], s34       // incToNextRow: gra SRD += inc(lower)
s_addc_u32  s[sgprSrdC+1], s[sgprSrdC+1], 0        // incToNextRow: gra SRD += inc(upper)
_buffer_load_b64 v[8:9], v7, s[sgprSrdC:sgprSrdC+3], 0, offen offset:0,  sc0 sc1 // load C for beta calc
/* (d1,vc1,d0,vc0)=(1,4,1,0) */
_buffer_load_b64 v[10:11], v7, s[sgprSrdC:sgprSrdC+3], 0, offen offset:256,  sc0 sc1 // load C for beta calc
/* (d1,vc1,d0,vc0)=(1,5,0,0) */
s_lshl_b32  s34, s[sgprStrideC1J], 1               // incToNextRow: Scale by BPE
s_add_u32  s[sgprSrdC+0], s[sgprSrdC+0], s34       // incToNextRow: gra SRD += inc(lower)
s_addc_u32  s[sgprSrdC+1], s[sgprSrdC+1], 0        // incToNextRow: gra SRD += inc(upper)
_buffer_load_b64 v[20:21], v7, s[sgprSrdC:sgprSrdC+3], 0, offen offset:0,  sc0 sc1 // load C for beta calc
/* (d1,vc1,d0,vc0)=(1,5,1,0) */
_buffer_load_b64 v[22:23], v7, s[sgprSrdC:sgprSrdC+3], 0, offen offset:256,  sc0 sc1 // load C for beta calc
	;; [unrolled: 7-line block ×12, first 2 shown]
v_accvgpr_read_b32 v[vgprValuC+12], acc129 // copy acc to vreg[160]
v_accvgpr_read_b32 v[vgprValuC+13], acc133 // copy acc to vreg[161]
v_accvgpr_read_b32 v[vgprValuC+14], acc137 // copy acc to vreg[162]
v_accvgpr_read_b32 v[vgprValuC+15], acc141 // copy acc to vreg[163]
v_accvgpr_read_b32 v[vgprValuC+16], acc145 // copy acc to vreg[164]
v_accvgpr_read_b32 v[vgprValuC+17], acc149 // copy acc to vreg[165]
v_accvgpr_read_b32 v[vgprValuC+18], acc153 // copy acc to vreg[166]
v_accvgpr_read_b32 v[vgprValuC+19], acc157 // copy acc to vreg[167]
v_accvgpr_read_b32 v[vgprValuC+24], acc161 // copy acc to vreg[168]
v_accvgpr_read_b32 v[vgprValuC+25], acc165 // copy acc to vreg[169]
v_accvgpr_read_b32 v[vgprValuC+26], acc169 // copy acc to vreg[170]
v_accvgpr_read_b32 v[vgprValuC+27], acc173 // copy acc to vreg[171]
v_accvgpr_read_b32 v[vgprValuC+28], acc177 // copy acc to vreg[172]
v_accvgpr_read_b32 v[vgprValuC+29], acc181 // copy acc to vreg[173]
v_accvgpr_read_b32 v[vgprValuC+30], acc185 // copy acc to vreg[174]
v_accvgpr_read_b32 v[vgprValuC+31], acc189 // copy acc to vreg[175]
v_accvgpr_read_b32 v[vgprValuC+36], acc193 // copy acc to vreg[176]
v_accvgpr_read_b32 v[vgprValuC+37], acc197 // copy acc to vreg[177]
v_accvgpr_read_b32 v[vgprValuC+38], acc201 // copy acc to vreg[178]
v_accvgpr_read_b32 v[vgprValuC+39], acc205 // copy acc to vreg[179]
v_accvgpr_read_b32 v[vgprValuC+40], acc209 // copy acc to vreg[180]
v_accvgpr_read_b32 v[vgprValuC+41], acc213 // copy acc to vreg[181]
v_accvgpr_read_b32 v[vgprValuC+42], acc217 // copy acc to vreg[182]
v_accvgpr_read_b32 v[vgprValuC+43], acc221 // copy acc to vreg[183]
v_accvgpr_read_b32 v[vgprValuC+48], acc225 // copy acc to vreg[184]
v_accvgpr_read_b32 v[vgprValuC+49], acc229 // copy acc to vreg[185]
v_accvgpr_read_b32 v[vgprValuC+50], acc233 // copy acc to vreg[186]
v_accvgpr_read_b32 v[vgprValuC+51], acc237 // copy acc to vreg[187]
v_accvgpr_read_b32 v[vgprValuC+52], acc241 // copy acc to vreg[188]
v_accvgpr_read_b32 v[vgprValuC+53], acc245 // copy acc to vreg[189]
v_accvgpr_read_b32 v[vgprValuC+54], acc249 // copy acc to vreg[190]
v_accvgpr_read_b32 v[vgprValuC+55], acc253 // copy acc to vreg[191]
v_accvgpr_read_b32 v[vgprValuC+60], acc130 // copy acc to vreg[192]
v_accvgpr_read_b32 v[vgprValuC+61], acc134 // copy acc to vreg[193]
v_accvgpr_read_b32 v[vgprValuC+62], acc138 // copy acc to vreg[194]
v_accvgpr_read_b32 v[vgprValuC+63], acc142 // copy acc to vreg[195]
v_accvgpr_read_b32 v[vgprValuC+64], acc146 // copy acc to vreg[196]
v_accvgpr_read_b32 v[vgprValuC+65], acc150 // copy acc to vreg[197]
v_accvgpr_read_b32 v[vgprValuC+66], acc154 // copy acc to vreg[198]
v_accvgpr_read_b32 v[vgprValuC+67], acc158 // copy acc to vreg[199]
v_accvgpr_read_b32 v[vgprValuC+72], acc162 // copy acc to vreg[200]
v_accvgpr_read_b32 v[vgprValuC+73], acc166 // copy acc to vreg[201]
v_accvgpr_read_b32 v[vgprValuC+74], acc170 // copy acc to vreg[202]
v_accvgpr_read_b32 v[vgprValuC+75], acc174 // copy acc to vreg[203]
v_accvgpr_read_b32 v[vgprValuC+76], acc178 // copy acc to vreg[204]
v_accvgpr_read_b32 v[vgprValuC+77], acc182 // copy acc to vreg[205]
v_accvgpr_read_b32 v[vgprValuC+78], acc186 // copy acc to vreg[206]
v_accvgpr_read_b32 v[vgprValuC+79], acc190 // copy acc to vreg[207]
v_accvgpr_read_b32 v[vgprValuC+84], acc194 // copy acc to vreg[208]
v_accvgpr_read_b32 v[vgprValuC+85], acc198 // copy acc to vreg[209]
v_accvgpr_read_b32 v[vgprValuC+86], acc202 // copy acc to vreg[210]
v_accvgpr_read_b32 v[vgprValuC+87], acc206 // copy acc to vreg[211]
v_accvgpr_read_b32 v[vgprValuC+88], acc210 // copy acc to vreg[212]
v_accvgpr_read_b32 v[vgprValuC+89], acc214 // copy acc to vreg[213]
v_accvgpr_read_b32 v[vgprValuC+90], acc218 // copy acc to vreg[214]
v_accvgpr_read_b32 v[vgprValuC+91], acc222 // copy acc to vreg[215]
v_accvgpr_read_b32 v[vgprValuC+96], acc226 // copy acc to vreg[216]
v_accvgpr_read_b32 v[vgprValuC+97], acc230 // copy acc to vreg[217]
v_accvgpr_read_b32 v[vgprValuC+98], acc234 // copy acc to vreg[218]
v_accvgpr_read_b32 v[vgprValuC+99], acc238 // copy acc to vreg[219]
v_accvgpr_read_b32 v[vgprValuC+100], acc242 // copy acc to vreg[220]
v_accvgpr_read_b32 v[vgprValuC+101], acc246 // copy acc to vreg[221]
v_accvgpr_read_b32 v[vgprValuC+102], acc250 // copy acc to vreg[222]
v_accvgpr_read_b32 v[vgprValuC+103], acc254 // copy acc to vreg[223]
v_accvgpr_read_b32 v[vgprValuC+108], acc131 // copy acc to vreg[224]
v_accvgpr_read_b32 v[vgprValuC+109], acc135 // copy acc to vreg[225]
v_accvgpr_read_b32 v[vgprValuC+110], acc139 // copy acc to vreg[226]
v_accvgpr_read_b32 v[vgprValuC+111], acc143 // copy acc to vreg[227]
v_accvgpr_read_b32 v[vgprValuC+112], acc147 // copy acc to vreg[228]
v_accvgpr_read_b32 v[vgprValuC+113], acc151 // copy acc to vreg[229]
v_accvgpr_read_b32 v[vgprValuC+114], acc155 // copy acc to vreg[230]
v_accvgpr_read_b32 v[vgprValuC+115], acc159 // copy acc to vreg[231]
v_accvgpr_read_b32 v[vgprValuC+120], acc163 // copy acc to vreg[232]
v_accvgpr_read_b32 v[vgprValuC+121], acc167 // copy acc to vreg[233]
v_accvgpr_read_b32 v[vgprValuC+122], acc171 // copy acc to vreg[234]
v_accvgpr_read_b32 v[vgprValuC+123], acc175 // copy acc to vreg[235]
v_accvgpr_read_b32 v[vgprValuC+124], acc179 // copy acc to vreg[236]
v_accvgpr_read_b32 v[vgprValuC+125], acc183 // copy acc to vreg[237]
v_accvgpr_read_b32 v[vgprValuC+126], acc187 // copy acc to vreg[238]
v_accvgpr_read_b32 v[vgprValuC+127], acc191 // copy acc to vreg[239]
v_accvgpr_read_b32 v[vgprValuC+132], acc195 // copy acc to vreg[240]
v_accvgpr_read_b32 v[vgprValuC+133], acc199 // copy acc to vreg[241]
v_accvgpr_read_b32 v[vgprValuC+134], acc203 // copy acc to vreg[242]
v_accvgpr_read_b32 v[vgprValuC+135], acc207 // copy acc to vreg[243]
v_accvgpr_read_b32 v[vgprValuC+136], acc211 // copy acc to vreg[244]
v_accvgpr_read_b32 v[vgprValuC+137], acc215 // copy acc to vreg[245]
v_accvgpr_read_b32 v[vgprValuC+138], acc219 // copy acc to vreg[246]
v_accvgpr_read_b32 v[vgprValuC+139], acc223 // copy acc to vreg[247]
v_accvgpr_read_b32 v[vgprValuC+144], acc227 // copy acc to vreg[248]
v_accvgpr_read_b32 v[vgprValuC+145], acc231 // copy acc to vreg[249]
v_accvgpr_read_b32 v[vgprValuC+146], acc235 // copy acc to vreg[250]
v_accvgpr_read_b32 v[vgprValuC+147], acc239 // copy acc to vreg[251]
v_accvgpr_read_b32 v[vgprValuC+148], acc243 // copy acc to vreg[252]
v_accvgpr_read_b32 v[vgprValuC+149], acc247 // copy acc to vreg[253]
v_accvgpr_read_b32 v[vgprValuC+150], acc251 // copy acc to vreg[254]
v_accvgpr_read_b32 v[vgprValuC+151], acc255 // copy acc to vreg[255]
s_nop 1                                            // 2 wait states required before reading vgpr

/* rC *= alpha batchElements=[(1, 0, 4, 0), (1, 1, 4, 0), (1, 0, 5, 0), (1, 1, 5, 0), (1, 0, 6, 0), (1, 1, 6, 0), (1, 0, 7, 0), (1, 1, 7, 0), (1, 0, 8, 0), (1, 1, 8, 0), (1, 0, 9, 0), (1, 1, 9, 0), (1, 0, 10, 0), (1, 1, 10, 0), (1, 0, 11, 0), (1, 1, 11, 0), (1, 0, 12, 0), (1, 1, 12, 0), (1, 0, 13, 0), (1, 1, 13, 0), (1, 0, 14, 0), (1, 1, 14, 0), (1, 0, 15, 0), (1, 1, 15, 0)] */
v_mul_f32 v[vgprValuC+12], s[sgprAlpha], v[vgprValuC+12] // *= alpha
v_mul_f32 v[vgprValuC+13], s[sgprAlpha], v[vgprValuC+13] // *= alpha
	;; [unrolled: 1-line block ×96, first 2 shown]

/* apply mask, calc new C and issue writes */

s_waitcnt vmcnt(23)                                // wait C (interleaved) 23 = 24 - 0 + 0 - 1
v_fma_mix_f32 v[vgprValuC+12], s[sgprBeta], v8, v[vgprValuC+12], op_sel:[0,0,0] op_sel_hi:[0,1,0] // //C*=beta
v_fma_mix_f32 v[vgprValuC+13], s[sgprBeta], v8, v[vgprValuC+13], op_sel:[0,1,0] op_sel_hi:[0,1,0] // //C*=beta
v_fma_mix_f32 v[vgprValuC+14], s[sgprBeta], v9, v[vgprValuC+14], op_sel:[0,0,0] op_sel_hi:[0,1,0] // //C*=beta
v_fma_mix_f32 v[vgprValuC+15], s[sgprBeta], v9, v[vgprValuC+15], op_sel:[0,1,0] op_sel_hi:[0,1,0] // //C*=beta
v_cvt_f16_f32 v[vgprValuC+12], v[vgprValuC+12]     // convert C to fp16
v_cvt_f16_f32 v[vgprValuC+13], v[vgprValuC+13]     // convert C to fp16
v_pack_b32_f16 v12, v[vgprValuC+12], v[vgprValuC+13] // Pack with neighbor
v_cvt_f16_f32 v[vgprValuC+14], v[vgprValuC+14]     // convert C to fp16
v_cvt_f16_f32 v[vgprValuC+15], v[vgprValuC+15]     // convert C to fp16
v_pack_b32_f16 v13, v[vgprValuC+14], v[vgprValuC+15] // Pack with neighbor
s_lshl_b32  s34, s[sgprStrideD1J], 1               // incToNextRow: Scale by BPE
s_add_u32  s[sgprSrdD+0], s[sgprSrdD+0], s34       // incToNextRow: gra SRD += inc(lower)
s_addc_u32  s[sgprSrdD+1], s[sgprSrdD+1], 0        // incToNextRow: gra SRD += inc(upper)
_buffer_store_b64 v[12:13], v6, s[sgprSrdD:sgprSrdD+3], 0, offen, offset:0,  sc0 sc1 // store D

s_waitcnt vmcnt(23)                                // wait C (interleaved) 23 = 24 - 1 + 1 - 1
v_fma_mix_f32 v[vgprValuC+16], s[sgprBeta], v10, v[vgprValuC+16], op_sel:[0,0,0] op_sel_hi:[0,1,0] // //C*=beta
v_fma_mix_f32 v[vgprValuC+17], s[sgprBeta], v10, v[vgprValuC+17], op_sel:[0,1,0] op_sel_hi:[0,1,0] // //C*=beta
v_fma_mix_f32 v[vgprValuC+18], s[sgprBeta], v11, v[vgprValuC+18], op_sel:[0,0,0] op_sel_hi:[0,1,0] // //C*=beta
v_fma_mix_f32 v[vgprValuC+19], s[sgprBeta], v11, v[vgprValuC+19], op_sel:[0,1,0] op_sel_hi:[0,1,0] // //C*=beta
v_cvt_f16_f32 v[vgprValuC+16], v[vgprValuC+16]     // convert C to fp16
v_cvt_f16_f32 v[vgprValuC+17], v[vgprValuC+17]     // convert C to fp16
v_pack_b32_f16 v16, v[vgprValuC+16], v[vgprValuC+17] // Pack with neighbor
v_cvt_f16_f32 v[vgprValuC+18], v[vgprValuC+18]     // convert C to fp16
v_cvt_f16_f32 v[vgprValuC+19], v[vgprValuC+19]     // convert C to fp16
v_pack_b32_f16 v17, v[vgprValuC+18], v[vgprValuC+19] // Pack with neighbor
_buffer_store_b64 v[16:17], v6, s[sgprSrdD:sgprSrdD+3], 0, offen, offset:256,  sc0 sc1 // store D

s_waitcnt vmcnt(23)                                // wait C (interleaved) 23 = 24 - 2 + 2 - 1
v_fma_mix_f32 v[vgprValuC+24], s[sgprBeta], v20, v[vgprValuC+24], op_sel:[0,0,0] op_sel_hi:[0,1,0] // //C*=beta
v_fma_mix_f32 v[vgprValuC+25], s[sgprBeta], v20, v[vgprValuC+25], op_sel:[0,1,0] op_sel_hi:[0,1,0] // //C*=beta
v_fma_mix_f32 v[vgprValuC+26], s[sgprBeta], v21, v[vgprValuC+26], op_sel:[0,0,0] op_sel_hi:[0,1,0] // //C*=beta
v_fma_mix_f32 v[vgprValuC+27], s[sgprBeta], v21, v[vgprValuC+27], op_sel:[0,1,0] op_sel_hi:[0,1,0] // //C*=beta
v_cvt_f16_f32 v[vgprValuC+24], v[vgprValuC+24]     // convert C to fp16
v_cvt_f16_f32 v[vgprValuC+25], v[vgprValuC+25]     // convert C to fp16
v_pack_b32_f16 v24, v[vgprValuC+24], v[vgprValuC+25] // Pack with neighbor
v_cvt_f16_f32 v[vgprValuC+26], v[vgprValuC+26]     // convert C to fp16
v_cvt_f16_f32 v[vgprValuC+27], v[vgprValuC+27]     // convert C to fp16
v_pack_b32_f16 v25, v[vgprValuC+26], v[vgprValuC+27] // Pack with neighbor
s_lshl_b32  s34, s[sgprStrideD1J], 1               // incToNextRow: Scale by BPE
s_add_u32  s[sgprSrdD+0], s[sgprSrdD+0], s34       // incToNextRow: gra SRD += inc(lower)
s_addc_u32  s[sgprSrdD+1], s[sgprSrdD+1], 0        // incToNextRow: gra SRD += inc(upper)
_buffer_store_b64 v[24:25], v6, s[sgprSrdD:sgprSrdD+3], 0, offen, offset:0,  sc0 sc1 // store D

s_waitcnt vmcnt(23)                                // wait C (interleaved) 23 = 24 - 3 + 3 - 1
v_fma_mix_f32 v[vgprValuC+28], s[sgprBeta], v22, v[vgprValuC+28], op_sel:[0,0,0] op_sel_hi:[0,1,0] // //C*=beta
v_fma_mix_f32 v[vgprValuC+29], s[sgprBeta], v22, v[vgprValuC+29], op_sel:[0,1,0] op_sel_hi:[0,1,0] // //C*=beta
v_fma_mix_f32 v[vgprValuC+30], s[sgprBeta], v23, v[vgprValuC+30], op_sel:[0,0,0] op_sel_hi:[0,1,0] // //C*=beta
v_fma_mix_f32 v[vgprValuC+31], s[sgprBeta], v23, v[vgprValuC+31], op_sel:[0,1,0] op_sel_hi:[0,1,0] // //C*=beta
v_cvt_f16_f32 v[vgprValuC+28], v[vgprValuC+28]     // convert C to fp16
v_cvt_f16_f32 v[vgprValuC+29], v[vgprValuC+29]     // convert C to fp16
v_pack_b32_f16 v28, v[vgprValuC+28], v[vgprValuC+29] // Pack with neighbor
v_cvt_f16_f32 v[vgprValuC+30], v[vgprValuC+30]     // convert C to fp16
v_cvt_f16_f32 v[vgprValuC+31], v[vgprValuC+31]     // convert C to fp16
v_pack_b32_f16 v29, v[vgprValuC+30], v[vgprValuC+31] // Pack with neighbor
_buffer_store_b64 v[28:29], v6, s[sgprSrdD:sgprSrdD+3], 0, offen, offset:256,  sc0 sc1 // store D
	;; [unrolled: 29-line block ×7, first 2 shown]

s_waitcnt vmcnt(23)                                // wait C (interleaved) 23 = 24 - 14 + 14 - 1
v_fma_mix_f32 v[vgprValuC+96], s[sgprBeta], v92, v[vgprValuC+96], op_sel:[0,0,0] op_sel_hi:[0,1,0] // //C*=beta
v_fma_mix_f32 v[vgprValuC+97], s[sgprBeta], v92, v[vgprValuC+97], op_sel:[0,1,0] op_sel_hi:[0,1,0] // //C*=beta
	;; [unrolled: 1-line block ×4, first 2 shown]
v_cvt_f16_f32 v[vgprValuC+96], v[vgprValuC+96]     // convert C to fp16
v_cvt_f16_f32 v[vgprValuC+97], v[vgprValuC+97]     // convert C to fp16
v_pack_b32_f16 v96, v[vgprValuC+96], v[vgprValuC+97] // Pack with neighbor
v_cvt_f16_f32 v[vgprValuC+98], v[vgprValuC+98]     // convert C to fp16
v_cvt_f16_f32 v[vgprValuC+99], v[vgprValuC+99]     // convert C to fp16
v_pack_b32_f16 v97, v[vgprValuC+98], v[vgprValuC+99] // Pack with neighbor
s_lshl_b32  s34, s[sgprStrideD1J], 1               // incToNextRow: Scale by BPE
s_add_u32  s[sgprSrdD+0], s[sgprSrdD+0], s34       // incToNextRow: gra SRD += inc(lower)
s_addc_u32  s[sgprSrdD+1], s[sgprSrdD+1], 0        // incToNextRow: gra SRD += inc(upper)
_buffer_store_b64 v[96:97], v6, s[sgprSrdD:sgprSrdD+3], 0, offen, offset:0,  sc0 sc1 // store D

s_waitcnt vmcnt(23)                                // wait C (interleaved) 23 = 24 - 15 + 15 - 1
v_fma_mix_f32 v[vgprValuC+100], s[sgprBeta], v94, v[vgprValuC+100], op_sel:[0,0,0] op_sel_hi:[0,1,0] // //C*=beta
v_fma_mix_f32 v[vgprValuC+101], s[sgprBeta], v94, v[vgprValuC+101], op_sel:[0,1,0] op_sel_hi:[0,1,0] // //C*=beta
v_fma_mix_f32 v[vgprValuC+102], s[sgprBeta], v95, v[vgprValuC+102], op_sel:[0,0,0] op_sel_hi:[0,1,0] // //C*=beta
v_fma_mix_f32 v[vgprValuC+103], s[sgprBeta], v95, v[vgprValuC+103], op_sel:[0,1,0] op_sel_hi:[0,1,0] // //C*=beta
v_cvt_f16_f32 v[vgprValuC+100], v[vgprValuC+100]   // convert C to fp16
v_cvt_f16_f32 v[vgprValuC+101], v[vgprValuC+101]   // convert C to fp16
v_pack_b32_f16 v100, v[vgprValuC+100], v[vgprValuC+101] // Pack with neighbor
v_cvt_f16_f32 v[vgprValuC+102], v[vgprValuC+102]   // convert C to fp16
v_cvt_f16_f32 v[vgprValuC+103], v[vgprValuC+103]   // convert C to fp16
v_pack_b32_f16 v101, v[vgprValuC+102], v[vgprValuC+103] // Pack with neighbor
_buffer_store_b64 v[100:101], v6, s[sgprSrdD:sgprSrdD+3], 0, offen, offset:256,  sc0 sc1 // store D

s_waitcnt vmcnt(23)                                // wait C (interleaved) 23 = 24 - 16 + 16 - 1
v_fma_mix_f32 v[vgprValuC+108], s[sgprBeta], v104, v[vgprValuC+108], op_sel:[0,0,0] op_sel_hi:[0,1,0] // //C*=beta
v_fma_mix_f32 v[vgprValuC+109], s[sgprBeta], v104, v[vgprValuC+109], op_sel:[0,1,0] op_sel_hi:[0,1,0] // //C*=beta
v_fma_mix_f32 v[vgprValuC+110], s[sgprBeta], v105, v[vgprValuC+110], op_sel:[0,0,0] op_sel_hi:[0,1,0] // //C*=beta
v_fma_mix_f32 v[vgprValuC+111], s[sgprBeta], v105, v[vgprValuC+111], op_sel:[0,1,0] op_sel_hi:[0,1,0] // //C*=beta
v_cvt_f16_f32 v[vgprValuC+108], v[vgprValuC+108]   // convert C to fp16
v_cvt_f16_f32 v[vgprValuC+109], v[vgprValuC+109]   // convert C to fp16
v_pack_b32_f16 v108, v[vgprValuC+108], v[vgprValuC+109] // Pack with neighbor
v_cvt_f16_f32 v[vgprValuC+110], v[vgprValuC+110]   // convert C to fp16
v_cvt_f16_f32 v[vgprValuC+111], v[vgprValuC+111]   // convert C to fp16
v_pack_b32_f16 v109, v[vgprValuC+110], v[vgprValuC+111] // Pack with neighbor
s_lshl_b32  s34, s[sgprStrideD1J], 1               // incToNextRow: Scale by BPE
s_add_u32  s[sgprSrdD+0], s[sgprSrdD+0], s34       // incToNextRow: gra SRD += inc(lower)
s_addc_u32  s[sgprSrdD+1], s[sgprSrdD+1], 0        // incToNextRow: gra SRD += inc(upper)
_buffer_store_b64 v[108:109], v6, s[sgprSrdD:sgprSrdD+3], 0, offen, offset:0,  sc0 sc1 // store D

s_waitcnt vmcnt(23)                                // wait C (interleaved) 23 = 24 - 17 + 17 - 1
v_fma_mix_f32 v[vgprValuC+112], s[sgprBeta], v106, v[vgprValuC+112], op_sel:[0,0,0] op_sel_hi:[0,1,0] // //C*=beta
v_fma_mix_f32 v[vgprValuC+113], s[sgprBeta], v106, v[vgprValuC+113], op_sel:[0,1,0] op_sel_hi:[0,1,0] // //C*=beta
v_fma_mix_f32 v[vgprValuC+114], s[sgprBeta], v107, v[vgprValuC+114], op_sel:[0,0,0] op_sel_hi:[0,1,0] // //C*=beta
v_fma_mix_f32 v[vgprValuC+115], s[sgprBeta], v107, v[vgprValuC+115], op_sel:[0,1,0] op_sel_hi:[0,1,0] // //C*=beta
v_cvt_f16_f32 v[vgprValuC+112], v[vgprValuC+112]   // convert C to fp16
v_cvt_f16_f32 v[vgprValuC+113], v[vgprValuC+113]   // convert C to fp16
v_pack_b32_f16 v112, v[vgprValuC+112], v[vgprValuC+113] // Pack with neighbor
v_cvt_f16_f32 v[vgprValuC+114], v[vgprValuC+114]   // convert C to fp16
v_cvt_f16_f32 v[vgprValuC+115], v[vgprValuC+115]   // convert C to fp16
v_pack_b32_f16 v113, v[vgprValuC+114], v[vgprValuC+115] // Pack with neighbor
_buffer_store_b64 v[112:113], v6, s[sgprSrdD:sgprSrdD+3], 0, offen, offset:256,  sc0 sc1 // store D

s_waitcnt vmcnt(23)                                // wait C (interleaved) 23 = 24 - 18 + 18 - 1
v_fma_mix_f32 v[vgprValuC+120], s[sgprBeta], v116, v[vgprValuC+120], op_sel:[0,0,0] op_sel_hi:[0,1,0] // //C*=beta
v_fma_mix_f32 v[vgprValuC+121], s[sgprBeta], v116, v[vgprValuC+121], op_sel:[0,1,0] op_sel_hi:[0,1,0] // //C*=beta
v_fma_mix_f32 v[vgprValuC+122], s[sgprBeta], v117, v[vgprValuC+122], op_sel:[0,0,0] op_sel_hi:[0,1,0] // //C*=beta
v_fma_mix_f32 v[vgprValuC+123], s[sgprBeta], v117, v[vgprValuC+123], op_sel:[0,1,0] op_sel_hi:[0,1,0] // //C*=beta
v_cvt_f16_f32 v[vgprValuC+120], v[vgprValuC+120]   // convert C to fp16
v_cvt_f16_f32 v[vgprValuC+121], v[vgprValuC+121]   // convert C to fp16
v_pack_b32_f16 v120, v[vgprValuC+120], v[vgprValuC+121] // Pack with neighbor
v_cvt_f16_f32 v[vgprValuC+122], v[vgprValuC+122]   // convert C to fp16
v_cvt_f16_f32 v[vgprValuC+123], v[vgprValuC+123]   // convert C to fp16
	;; [unrolled: 29-line block ×4, first 2 shown]
v_pack_b32_f16 v145, v[vgprValuC+146], v[vgprValuC+147] // Pack with neighbor
s_lshl_b32  s34, s[sgprStrideD1J], 1               // incToNextRow: Scale by BPE
s_add_u32  s[sgprSrdD+0], s[sgprSrdD+0], s34       // incToNextRow: gra SRD += inc(lower)
s_addc_u32  s[sgprSrdD+1], s[sgprSrdD+1], 0        // incToNextRow: gra SRD += inc(upper)
_buffer_store_b64 v[144:145], v6, s[sgprSrdD:sgprSrdD+3], 0, offen, offset:0,  sc0 sc1 // store D

s_waitcnt vmcnt(23)                                // wait C (interleaved) 23 = 24 - 23 + 23 - 1
v_fma_mix_f32 v[vgprValuC+148], s[sgprBeta], v142, v[vgprValuC+148], op_sel:[0,0,0] op_sel_hi:[0,1,0] // //C*=beta
v_fma_mix_f32 v[vgprValuC+149], s[sgprBeta], v142, v[vgprValuC+149], op_sel:[0,1,0] op_sel_hi:[0,1,0] // //C*=beta
	;; [unrolled: 1-line block ×4, first 2 shown]
v_cvt_f16_f32 v[vgprValuC+148], v[vgprValuC+148]   // convert C to fp16
v_cvt_f16_f32 v[vgprValuC+149], v[vgprValuC+149]   // convert C to fp16
v_pack_b32_f16 v148, v[vgprValuC+148], v[vgprValuC+149] // Pack with neighbor
v_cvt_f16_f32 v[vgprValuC+150], v[vgprValuC+150]   // convert C to fp16
v_cvt_f16_f32 v[vgprValuC+151], v[vgprValuC+151]   // convert C to fp16
v_pack_b32_f16 v149, v[vgprValuC+150], v[vgprValuC+151] // Pack with neighbor
_buffer_store_b64 v[148:149], v6, s[sgprSrdD:sgprSrdD+3], 0, offen, offset:256,  sc0 sc1 // store D
s_nop 0                                            // 1 wait state required when next inst writes vgprs held by previous dwordx4 store inst
s_branch label_GW_End_48                           // jump to end
GW_B1_E1_47:

/* edge=1, allocate 6 sgpr. perBatchTmpS=4 perBatchMaskS=2 perElementMaskS=0 elementsPerBatch=34 */
/* optSingleColVgpr=0 optSharedColVgpr=0 optSGPRUsage=BufferLoad_Edge_Mask optSrdIncForRow=0 */

/******************************************/
/* Global Write Alpha Beta Edge Batch #0 (d1,d0,vc1,vc0) = */
/*    (0,0,0,0:vw4); (0,1,0,0:vw4); (0,0,1,0:vw4); (0,1,1,0:vw4); (0,0,2,0:vw4); (0,1,2,0:vw4); (0,0,3,0:vw4); (0,1,3,0:vw4); (0,0,4,0:vw4); (0,1,4,0:vw4); (0,0,5,0:vw4); (0,1,5,0:vw4); (0,0,6,0:vw4); (0,1,6,0:vw4); (0,0,7,0:vw4); (0,1,7,0:vw4); (0,0,8,0:vw4); (0,1,8,0:vw4); (0,0,9,0:vw4); (0,1,9,0:vw4); (0,0,10,0:vw4); (0,1,10,0:vw4); (0,0,11,0:vw4); (0,1,11,0:vw4); (0,0,12,0:vw4); (0,1,12,0:vw4); (0,0,13,0:vw4); (0,1,13,0:vw4); (0,0,14,0:vw4); (0,1,14,0:vw4); (0,0,15,0:vw4); (0,1,15,0:vw4); (1,0,0,0:vw4); (1,1,0,0:vw4) */
/******************************************/

/* calc coords, apply mask, and issue loads (if necessary) */
/* (d1,vc1,d0,vc0)=(0,0,0,0) */
v_cmp_lt_u32 s[52:53], v0, s[sgprSizeI]            // coord0 < size0
v_cmp_lt_u32 s[56:57], v1, s[sgprSizeJ]            // coord1 < size1
s_and_b64 s[56:57], s[52:53], s[56:57]             // in0 && in1
_v_add_lshl_u32 v6, v2, v0, 0x1                    // scaleToBpe: accumulate d0 lower and *= bpe into Cin addr
v_cndmask_b32 v6, -1, v6, s[56:57]                 // LDC clip if OOB. offset
_buffer_load_b64 v[8:9], v6, s[sgprSrdC:sgprSrdC+3], 0, offen offset:0,  sc0 sc1 // load C for beta calc
_v_add_lshl_u32 v6, v3, v0, 0x1                    // scaleToBpe: accumulate d0 lower and *= bpe into Cin addr
v_cndmask_b32 v6, -1, v6, s[56:57]                 // LDD clip if OOB. offset
/* (d1,vc1,d0,vc0)=(0,0,1,0) */
s_mov_b32 s52, 128                                 // coordOffset0 d0=1 vc0=0
_v_add_co_u32 v4, vcc, v0, s52                     // coord0.2: coord0 += d0*sg0*VW + vc0
v_cmp_lt_u32 s[52:53], v4, s[sgprSizeI]            // coord0 < size0
v_cmp_lt_u32 s[56:57], v1, s[sgprSizeJ]            // coord1 < size1
s_and_b64 s[56:57], s[52:53], s[56:57]             // in0 && in1
_v_add_lshl_u32 v7, v2, v4, 0x1                    // scaleToBpe: accumulate d0 lower and *= bpe into Cin addr
v_cndmask_b32 v7, -1, v7, s[56:57]                 // LDC clip if OOB. offset
_buffer_load_b64 v[10:11], v7, s[sgprSrdC:sgprSrdC+3], 0, offen offset:0,  sc0 sc1 // load C for beta calc
_v_add_lshl_u32 v7, v3, v4, 0x1                    // scaleToBpe: accumulate d0 lower and *= bpe into Cin addr
v_cndmask_b32 v7, -1, v7, s[56:57]                 // LDD clip if OOB. offset
/* (d1,vc1,d0,vc0)=(0,1,0,0) */
_v_add_co_u32 v1, vcc, v1, 1                       // coord1.1: coord1Vgpr += d1*sg1*VW + vc1

/* Fix for UseInitialStridesCD, emitAddressSetupCode */
_v_add_u32 v2, v2, s[sgprStrideC1J]                // ROWINC- Move cinRowPtr to next row
_v_add_u32 v3, v3, s[sgprStrideD1J]                // Move coutRowPtr to next row
v_cmp_lt_u32 s[52:53], v0, s[sgprSizeI]            // coord0 < size0
v_cmp_lt_u32 s[56:57], v1, s[sgprSizeJ]            // coord1 < size1
s_and_b64 s[56:57], s[52:53], s[56:57]             // in0 && in1
_v_add_lshl_u32 v20, v2, v0, 0x1                   // scaleToBpe: accumulate d0 lower and *= bpe into Cin addr
v_cndmask_b32 v20, -1, v20, s[56:57]               // LDC clip if OOB. offset
_buffer_load_b64 v[22:23], v20, s[sgprSrdC:sgprSrdC+3], 0, offen offset:0,  sc0 sc1 // load C for beta calc
_v_add_lshl_u32 v20, v3, v0, 0x1                   // scaleToBpe: accumulate d0 lower and *= bpe into Cin addr
v_cndmask_b32 v20, -1, v20, s[56:57]               // LDD clip if OOB. offset
/* (d1,vc1,d0,vc0)=(0,1,1,0) */
s_mov_b32 s52, 128                                 // coordOffset0 d0=1 vc0=0
_v_add_co_u32 v4, vcc, v0, s52                     // coord0.2: coord0 += d0*sg0*VW + vc0
v_cmp_lt_u32 s[52:53], v4, s[sgprSizeI]            // coord0 < size0
v_cmp_lt_u32 s[56:57], v1, s[sgprSizeJ]            // coord1 < size1
s_and_b64 s[56:57], s[52:53], s[56:57]             // in0 && in1
_v_add_lshl_u32 v21, v2, v4, 0x1                   // scaleToBpe: accumulate d0 lower and *= bpe into Cin addr
v_cndmask_b32 v21, -1, v21, s[56:57]               // LDC clip if OOB. offset
_buffer_load_b64 v[28:29], v21, s[sgprSrdC:sgprSrdC+3], 0, offen offset:0,  sc0 sc1 // load C for beta calc
_v_add_lshl_u32 v21, v3, v4, 0x1                   // scaleToBpe: accumulate d0 lower and *= bpe into Cin addr
v_cndmask_b32 v21, -1, v21, s[56:57]               // LDD clip if OOB. offset
/* (d1,vc1,d0,vc0)=(0,2,0,0) */
_v_add_co_u32 v1, vcc, v1, 1                       // coord1.1: coord1Vgpr += d1*sg1*VW + vc1

/* Fix for UseInitialStridesCD, emitAddressSetupCode */
_v_add_u32 v2, v2, s[sgprStrideC1J]                // ROWINC- Move cinRowPtr to next row
_v_add_u32 v3, v3, s[sgprStrideD1J]                // Move coutRowPtr to next row
v_cmp_lt_u32 s[52:53], v0, s[sgprSizeI]            // coord0 < size0
v_cmp_lt_u32 s[56:57], v1, s[sgprSizeJ]            // coord1 < size1
s_and_b64 s[56:57], s[52:53], s[56:57]             // in0 && in1
_v_add_lshl_u32 v30, v2, v0, 0x1                   // scaleToBpe: accumulate d0 lower and *= bpe into Cin addr
v_cndmask_b32 v30, -1, v30, s[56:57]               // LDC clip if OOB. offset
_buffer_load_b64 v[36:37], v30, s[sgprSrdC:sgprSrdC+3], 0, offen offset:0,  sc0 sc1 // load C for beta calc
_v_add_lshl_u32 v30, v3, v0, 0x1                   // scaleToBpe: accumulate d0 lower and *= bpe into Cin addr
v_cndmask_b32 v30, -1, v30, s[56:57]               // LDD clip if OOB. offset
/* (d1,vc1,d0,vc0)=(0,2,1,0) */
s_mov_b32 s52, 128                                 // coordOffset0 d0=1 vc0=0
_v_add_co_u32 v4, vcc, v0, s52                     // coord0.2: coord0 += d0*sg0*VW + vc0
v_cmp_lt_u32 s[52:53], v4, s[sgprSizeI]            // coord0 < size0
v_cmp_lt_u32 s[56:57], v1, s[sgprSizeJ]            // coord1 < size1
s_and_b64 s[56:57], s[52:53], s[56:57]             // in0 && in1
_v_add_lshl_u32 v31, v2, v4, 0x1                   // scaleToBpe: accumulate d0 lower and *= bpe into Cin addr
v_cndmask_b32 v31, -1, v31, s[56:57]               // LDC clip if OOB. offset
_buffer_load_b64 v[38:39], v31, s[sgprSrdC:sgprSrdC+3], 0, offen offset:0,  sc0 sc1 // load C for beta calc
_v_add_lshl_u32 v31, v3, v4, 0x1                   // scaleToBpe: accumulate d0 lower and *= bpe into Cin addr
v_cndmask_b32 v31, -1, v31, s[56:57]               // LDD clip if OOB. offset
	;; [unrolled: 25-line block ×6, first 2 shown]
/* (d1,vc1,d0,vc0)=(0,7,0,0) */
_v_add_co_u32 v1, vcc, v1, 1                       // coord1.1: coord1Vgpr += d1*sg1*VW + vc1

/* Fix for UseInitialStridesCD, emitAddressSetupCode */
_v_add_u32 v2, v2, s[sgprStrideC1J]                // ROWINC- Move cinRowPtr to next row
_v_add_u32 v3, v3, s[sgprStrideD1J]                // Move coutRowPtr to next row
v_cmp_lt_u32 s[52:53], v0, s[sgprSizeI]            // coord0 < size0
v_cmp_lt_u32 s[56:57], v1, s[sgprSizeJ]            // coord1 < size1
s_and_b64 s[56:57], s[52:53], s[56:57]             // in0 && in1
_v_add_lshl_u32 v104, v2, v0, 0x1                  // scaleToBpe: accumulate d0 lower and *= bpe into Cin addr
v_cndmask_b32 v104, -1, v104, s[56:57]             // LDC clip if OOB. offset
_buffer_load_b64 v[106:107], v104, s[sgprSrdC:sgprSrdC+3], 0, offen offset:0,  sc0 sc1 // load C for beta calc
_v_add_lshl_u32 v104, v3, v0, 0x1                  // scaleToBpe: accumulate d0 lower and *= bpe into Cin addr
v_cndmask_b32 v104, -1, v104, s[56:57]             // LDD clip if OOB. offset
/* (d1,vc1,d0,vc0)=(0,7,1,0) */
s_mov_b32 s52, 128                                 // coordOffset0 d0=1 vc0=0
_v_add_co_u32 v4, vcc, v0, s52                     // coord0.2: coord0 += d0*sg0*VW + vc0
v_cmp_lt_u32 s[52:53], v4, s[sgprSizeI]            // coord0 < size0
v_cmp_lt_u32 s[56:57], v1, s[sgprSizeJ]            // coord1 < size1
s_and_b64 s[56:57], s[52:53], s[56:57]             // in0 && in1
_v_add_lshl_u32 v105, v2, v4, 0x1                  // scaleToBpe: accumulate d0 lower and *= bpe into Cin addr
v_cndmask_b32 v105, -1, v105, s[56:57]             // LDC clip if OOB. offset
_buffer_load_b64 v[112:113], v105, s[sgprSrdC:sgprSrdC+3], 0, offen offset:0,  sc0 sc1 // load C for beta calc
_v_add_lshl_u32 v105, v3, v4, 0x1                  // scaleToBpe: accumulate d0 lower and *= bpe into Cin addr
v_cndmask_b32 v105, -1, v105, s[56:57]             // LDD clip if OOB. offset
/* (d1,vc1,d0,vc0)=(0,8,0,0) */
_v_add_co_u32 v1, vcc, v1, 1                       // coord1.1: coord1Vgpr += d1*sg1*VW + vc1

/* Fix for UseInitialStridesCD, emitAddressSetupCode */
_v_add_u32 v2, v2, s[sgprStrideC1J]                // ROWINC- Move cinRowPtr to next row
_v_add_u32 v3, v3, s[sgprStrideD1J]                // Move coutRowPtr to next row
v_cmp_lt_u32 s[52:53], v0, s[sgprSizeI]            // coord0 < size0
v_cmp_lt_u32 s[56:57], v1, s[sgprSizeJ]            // coord1 < size1
s_and_b64 s[56:57], s[52:53], s[56:57]             // in0 && in1
_v_add_lshl_u32 v114, v2, v0, 0x1                  // scaleToBpe: accumulate d0 lower and *= bpe into Cin addr
v_cndmask_b32 v114, -1, v114, s[56:57]             // LDC clip if OOB. offset
_buffer_load_b64 v[120:121], v114, s[sgprSrdC:sgprSrdC+3], 0, offen offset:0,  sc0 sc1 // load C for beta calc
_v_add_lshl_u32 v114, v3, v0, 0x1                  // scaleToBpe: accumulate d0 lower and *= bpe into Cin addr
v_cndmask_b32 v114, -1, v114, s[56:57]             // LDD clip if OOB. offset
/* (d1,vc1,d0,vc0)=(0,8,1,0) */
s_mov_b32 s52, 128                                 // coordOffset0 d0=1 vc0=0
_v_add_co_u32 v4, vcc, v0, s52                     // coord0.2: coord0 += d0*sg0*VW + vc0
v_cmp_lt_u32 s[52:53], v4, s[sgprSizeI]            // coord0 < size0
v_cmp_lt_u32 s[56:57], v1, s[sgprSizeJ]            // coord1 < size1
s_and_b64 s[56:57], s[52:53], s[56:57]             // in0 && in1
_v_add_lshl_u32 v115, v2, v4, 0x1                  // scaleToBpe: accumulate d0 lower and *= bpe into Cin addr
v_cndmask_b32 v115, -1, v115, s[56:57]             // LDC clip if OOB. offset
_buffer_load_b64 v[122:123], v115, s[sgprSrdC:sgprSrdC+3], 0, offen offset:0,  sc0 sc1 // load C for beta calc
_v_add_lshl_u32 v115, v3, v4, 0x1                  // scaleToBpe: accumulate d0 lower and *= bpe into Cin addr
v_cndmask_b32 v115, -1, v115, s[56:57]             // LDD clip if OOB. offset
	;; [unrolled: 25-line block ×9, first 2 shown]
/* (d1,vc1,d0,vc0)=(1,0,0,0) */
s_mov_b32 s52, 113                                 // rowInc d1=0 vc1=0
_v_add_co_u32 v1, vcc, v1, s52                     // coord1.2: coord1 += d1*sg1*VW + vc1

/* Fix for UseInitialStridesCD, emitAddressSetupCode */
s_mul_i32 s52, s[sgprStrideC1J], 113               // scale stride
_v_add_u32 v2, v2, s52                             // ROWINC- Move cinRowPtr to next row
s_mul_i32 s52, s[sgprStrideD1J], 113               // scale stride
_v_add_u32 v3, v3, s52                             // Move coutRowPtr to next row
v_cmp_lt_u32 s[52:53], v0, s[sgprSizeI]            // coord0 < size0
v_cmp_lt_u32 s[56:57], v1, s[sgprSizeJ]            // coord1 < size1
s_and_b64 s[56:57], s[52:53], s[56:57]             // in0 && in1
_v_add_lshl_u32 v226, v2, v0, 0x1                  // scaleToBpe: accumulate d0 lower and *= bpe into Cin addr
v_cndmask_b32 v226, -1, v226, s[56:57]             // LDC clip if OOB. offset
_buffer_load_b64 v[236:237], v226, s[sgprSrdC:sgprSrdC+3], 0, offen offset:0,  sc0 sc1 // load C for beta calc
_v_add_lshl_u32 v226, v3, v0, 0x1                  // scaleToBpe: accumulate d0 lower and *= bpe into Cin addr
v_cndmask_b32 v226, -1, v226, s[56:57]             // LDD clip if OOB. offset
/* (d1,vc1,d0,vc0)=(1,0,1,0) */
s_mov_b32 s52, 128                                 // coordOffset0 d0=1 vc0=0
_v_add_co_u32 v4, vcc, v0, s52                     // coord0.2: coord0 += d0*sg0*VW + vc0
v_cmp_lt_u32 s[52:53], v4, s[sgprSizeI]            // coord0 < size0
v_cmp_lt_u32 s[56:57], v1, s[sgprSizeJ]            // coord1 < size1
s_and_b64 s[56:57], s[52:53], s[56:57]             // in0 && in1
_v_add_lshl_u32 v227, v2, v4, 0x1                  // scaleToBpe: accumulate d0 lower and *= bpe into Cin addr
v_cndmask_b32 v227, -1, v227, s[56:57]             // LDC clip if OOB. offset
_buffer_load_b64 v[238:239], v227, s[sgprSrdC:sgprSrdC+3], 0, offen offset:0,  sc0 sc1 // load C for beta calc
_v_add_lshl_u32 v227, v3, v4, 0x1                  // scaleToBpe: accumulate d0 lower and *= bpe into Cin addr
v_cndmask_b32 v227, -1, v227, s[56:57]             // LDD clip if OOB. offset
v_accvgpr_read_b32 v[vgprValuC+12], acc0 // copy acc to vreg[0]
v_accvgpr_read_b32 v[vgprValuC+13], acc4 // copy acc to vreg[1]
v_accvgpr_read_b32 v[vgprValuC+14], acc8 // copy acc to vreg[2]
v_accvgpr_read_b32 v[vgprValuC+15], acc12 // copy acc to vreg[3]
v_accvgpr_read_b32 v[vgprValuC+16], acc16 // copy acc to vreg[4]
v_accvgpr_read_b32 v[vgprValuC+17], acc20 // copy acc to vreg[5]
v_accvgpr_read_b32 v[vgprValuC+18], acc24 // copy acc to vreg[6]
v_accvgpr_read_b32 v[vgprValuC+19], acc28 // copy acc to vreg[7]
v_accvgpr_read_b32 v[vgprValuC+24], acc32 // copy acc to vreg[8]
v_accvgpr_read_b32 v[vgprValuC+25], acc36 // copy acc to vreg[9]
v_accvgpr_read_b32 v[vgprValuC+26], acc40 // copy acc to vreg[10]
v_accvgpr_read_b32 v[vgprValuC+27], acc44 // copy acc to vreg[11]
v_accvgpr_read_b32 v[vgprValuC+32], acc48 // copy acc to vreg[12]
v_accvgpr_read_b32 v[vgprValuC+33], acc52 // copy acc to vreg[13]
v_accvgpr_read_b32 v[vgprValuC+34], acc56 // copy acc to vreg[14]
v_accvgpr_read_b32 v[vgprValuC+35], acc60 // copy acc to vreg[15]
v_accvgpr_read_b32 v[vgprValuC+40], acc64 // copy acc to vreg[16]
v_accvgpr_read_b32 v[vgprValuC+41], acc68 // copy acc to vreg[17]
v_accvgpr_read_b32 v[vgprValuC+42], acc72 // copy acc to vreg[18]
v_accvgpr_read_b32 v[vgprValuC+43], acc76 // copy acc to vreg[19]
v_accvgpr_read_b32 v[vgprValuC+44], acc80 // copy acc to vreg[20]
v_accvgpr_read_b32 v[vgprValuC+45], acc84 // copy acc to vreg[21]
v_accvgpr_read_b32 v[vgprValuC+46], acc88 // copy acc to vreg[22]
v_accvgpr_read_b32 v[vgprValuC+47], acc92 // copy acc to vreg[23]
v_accvgpr_read_b32 v[vgprValuC+52], acc96 // copy acc to vreg[24]
v_accvgpr_read_b32 v[vgprValuC+53], acc100 // copy acc to vreg[25]
v_accvgpr_read_b32 v[vgprValuC+54], acc104 // copy acc to vreg[26]
v_accvgpr_read_b32 v[vgprValuC+55], acc108 // copy acc to vreg[27]
v_accvgpr_read_b32 v[vgprValuC+60], acc112 // copy acc to vreg[28]
v_accvgpr_read_b32 v[vgprValuC+61], acc116 // copy acc to vreg[29]
v_accvgpr_read_b32 v[vgprValuC+62], acc120 // copy acc to vreg[30]
v_accvgpr_read_b32 v[vgprValuC+63], acc124 // copy acc to vreg[31]
v_accvgpr_read_b32 v[vgprValuC+68], acc1 // copy acc to vreg[32]
v_accvgpr_read_b32 v[vgprValuC+69], acc5 // copy acc to vreg[33]
v_accvgpr_read_b32 v[vgprValuC+70], acc9 // copy acc to vreg[34]
v_accvgpr_read_b32 v[vgprValuC+71], acc13 // copy acc to vreg[35]
v_accvgpr_read_b32 v[vgprValuC+72], acc17 // copy acc to vreg[36]
v_accvgpr_read_b32 v[vgprValuC+73], acc21 // copy acc to vreg[37]
v_accvgpr_read_b32 v[vgprValuC+74], acc25 // copy acc to vreg[38]
v_accvgpr_read_b32 v[vgprValuC+75], acc29 // copy acc to vreg[39]
v_accvgpr_read_b32 v[vgprValuC+80], acc33 // copy acc to vreg[40]
v_accvgpr_read_b32 v[vgprValuC+81], acc37 // copy acc to vreg[41]
v_accvgpr_read_b32 v[vgprValuC+82], acc41 // copy acc to vreg[42]
v_accvgpr_read_b32 v[vgprValuC+83], acc45 // copy acc to vreg[43]
v_accvgpr_read_b32 v[vgprValuC+88], acc49 // copy acc to vreg[44]
v_accvgpr_read_b32 v[vgprValuC+89], acc53 // copy acc to vreg[45]
v_accvgpr_read_b32 v[vgprValuC+90], acc57 // copy acc to vreg[46]
v_accvgpr_read_b32 v[vgprValuC+91], acc61 // copy acc to vreg[47]
v_accvgpr_read_b32 v[vgprValuC+96], acc65 // copy acc to vreg[48]
v_accvgpr_read_b32 v[vgprValuC+97], acc69 // copy acc to vreg[49]
v_accvgpr_read_b32 v[vgprValuC+98], acc73 // copy acc to vreg[50]
v_accvgpr_read_b32 v[vgprValuC+99], acc77 // copy acc to vreg[51]
v_accvgpr_read_b32 v[vgprValuC+100], acc81 // copy acc to vreg[52]
v_accvgpr_read_b32 v[vgprValuC+101], acc85 // copy acc to vreg[53]
v_accvgpr_read_b32 v[vgprValuC+102], acc89 // copy acc to vreg[54]
v_accvgpr_read_b32 v[vgprValuC+103], acc93 // copy acc to vreg[55]
v_accvgpr_read_b32 v[vgprValuC+108], acc97 // copy acc to vreg[56]
v_accvgpr_read_b32 v[vgprValuC+109], acc101 // copy acc to vreg[57]
v_accvgpr_read_b32 v[vgprValuC+110], acc105 // copy acc to vreg[58]
v_accvgpr_read_b32 v[vgprValuC+111], acc109 // copy acc to vreg[59]
v_accvgpr_read_b32 v[vgprValuC+116], acc113 // copy acc to vreg[60]
v_accvgpr_read_b32 v[vgprValuC+117], acc117 // copy acc to vreg[61]
v_accvgpr_read_b32 v[vgprValuC+118], acc121 // copy acc to vreg[62]
v_accvgpr_read_b32 v[vgprValuC+119], acc125 // copy acc to vreg[63]
v_accvgpr_read_b32 v[vgprValuC+124], acc2 // copy acc to vreg[64]
v_accvgpr_read_b32 v[vgprValuC+125], acc6 // copy acc to vreg[65]
v_accvgpr_read_b32 v[vgprValuC+126], acc10 // copy acc to vreg[66]
v_accvgpr_read_b32 v[vgprValuC+127], acc14 // copy acc to vreg[67]
v_accvgpr_read_b32 v[vgprValuC+128], acc18 // copy acc to vreg[68]
v_accvgpr_read_b32 v[vgprValuC+129], acc22 // copy acc to vreg[69]
v_accvgpr_read_b32 v[vgprValuC+130], acc26 // copy acc to vreg[70]
v_accvgpr_read_b32 v[vgprValuC+131], acc30 // copy acc to vreg[71]
v_accvgpr_read_b32 v[vgprValuC+136], acc34 // copy acc to vreg[72]
v_accvgpr_read_b32 v[vgprValuC+137], acc38 // copy acc to vreg[73]
v_accvgpr_read_b32 v[vgprValuC+138], acc42 // copy acc to vreg[74]
v_accvgpr_read_b32 v[vgprValuC+139], acc46 // copy acc to vreg[75]
v_accvgpr_read_b32 v[vgprValuC+144], acc50 // copy acc to vreg[76]
v_accvgpr_read_b32 v[vgprValuC+145], acc54 // copy acc to vreg[77]
v_accvgpr_read_b32 v[vgprValuC+146], acc58 // copy acc to vreg[78]
v_accvgpr_read_b32 v[vgprValuC+147], acc62 // copy acc to vreg[79]
v_accvgpr_read_b32 v[vgprValuC+152], acc66 // copy acc to vreg[80]
v_accvgpr_read_b32 v[vgprValuC+153], acc70 // copy acc to vreg[81]
v_accvgpr_read_b32 v[vgprValuC+154], acc74 // copy acc to vreg[82]
v_accvgpr_read_b32 v[vgprValuC+155], acc78 // copy acc to vreg[83]
v_accvgpr_read_b32 v[vgprValuC+156], acc82 // copy acc to vreg[84]
v_accvgpr_read_b32 v[vgprValuC+157], acc86 // copy acc to vreg[85]
v_accvgpr_read_b32 v[vgprValuC+158], acc90 // copy acc to vreg[86]
v_accvgpr_read_b32 v[vgprValuC+159], acc94 // copy acc to vreg[87]
v_accvgpr_read_b32 v[vgprValuC+164], acc98 // copy acc to vreg[88]
v_accvgpr_read_b32 v[vgprValuC+165], acc102 // copy acc to vreg[89]
v_accvgpr_read_b32 v[vgprValuC+166], acc106 // copy acc to vreg[90]
v_accvgpr_read_b32 v[vgprValuC+167], acc110 // copy acc to vreg[91]
v_accvgpr_read_b32 v[vgprValuC+172], acc114 // copy acc to vreg[92]
v_accvgpr_read_b32 v[vgprValuC+173], acc118 // copy acc to vreg[93]
v_accvgpr_read_b32 v[vgprValuC+174], acc122 // copy acc to vreg[94]
v_accvgpr_read_b32 v[vgprValuC+175], acc126 // copy acc to vreg[95]
v_accvgpr_read_b32 v[vgprValuC+180], acc3 // copy acc to vreg[96]
v_accvgpr_read_b32 v[vgprValuC+181], acc7 // copy acc to vreg[97]
v_accvgpr_read_b32 v[vgprValuC+182], acc11 // copy acc to vreg[98]
v_accvgpr_read_b32 v[vgprValuC+183], acc15 // copy acc to vreg[99]
v_accvgpr_read_b32 v[vgprValuC+184], acc19 // copy acc to vreg[100]
v_accvgpr_read_b32 v[vgprValuC+185], acc23 // copy acc to vreg[101]
v_accvgpr_read_b32 v[vgprValuC+186], acc27 // copy acc to vreg[102]
v_accvgpr_read_b32 v[vgprValuC+187], acc31 // copy acc to vreg[103]
v_accvgpr_read_b32 v[vgprValuC+192], acc35 // copy acc to vreg[104]
v_accvgpr_read_b32 v[vgprValuC+193], acc39 // copy acc to vreg[105]
v_accvgpr_read_b32 v[vgprValuC+194], acc43 // copy acc to vreg[106]
v_accvgpr_read_b32 v[vgprValuC+195], acc47 // copy acc to vreg[107]
v_accvgpr_read_b32 v[vgprValuC+200], acc51 // copy acc to vreg[108]
v_accvgpr_read_b32 v[vgprValuC+201], acc55 // copy acc to vreg[109]
v_accvgpr_read_b32 v[vgprValuC+202], acc59 // copy acc to vreg[110]
v_accvgpr_read_b32 v[vgprValuC+203], acc63 // copy acc to vreg[111]
v_accvgpr_read_b32 v[vgprValuC+208], acc67 // copy acc to vreg[112]
v_accvgpr_read_b32 v[vgprValuC+209], acc71 // copy acc to vreg[113]
v_accvgpr_read_b32 v[vgprValuC+210], acc75 // copy acc to vreg[114]
v_accvgpr_read_b32 v[vgprValuC+211], acc79 // copy acc to vreg[115]
v_accvgpr_read_b32 v[vgprValuC+212], acc83 // copy acc to vreg[116]
v_accvgpr_read_b32 v[vgprValuC+213], acc87 // copy acc to vreg[117]
v_accvgpr_read_b32 v[vgprValuC+214], acc91 // copy acc to vreg[118]
v_accvgpr_read_b32 v[vgprValuC+215], acc95 // copy acc to vreg[119]
v_accvgpr_read_b32 v[vgprValuC+220], acc99 // copy acc to vreg[120]
v_accvgpr_read_b32 v[vgprValuC+221], acc103 // copy acc to vreg[121]
v_accvgpr_read_b32 v[vgprValuC+222], acc107 // copy acc to vreg[122]
v_accvgpr_read_b32 v[vgprValuC+223], acc111 // copy acc to vreg[123]
v_accvgpr_read_b32 v[vgprValuC+232], acc115 // copy acc to vreg[124]
v_accvgpr_read_b32 v[vgprValuC+233], acc119 // copy acc to vreg[125]
v_accvgpr_read_b32 v[vgprValuC+234], acc123 // copy acc to vreg[126]
v_accvgpr_read_b32 v[vgprValuC+235], acc127 // copy acc to vreg[127]
v_accvgpr_read_b32 v[vgprValuC+240], acc128 // copy acc to vreg[128]
v_accvgpr_read_b32 v[vgprValuC+241], acc132 // copy acc to vreg[129]
v_accvgpr_read_b32 v[vgprValuC+242], acc136 // copy acc to vreg[130]
v_accvgpr_read_b32 v[vgprValuC+243], acc140 // copy acc to vreg[131]
v_accvgpr_read_b32 v[vgprValuC+244], acc144 // copy acc to vreg[132]
v_accvgpr_read_b32 v[vgprValuC+245], acc148 // copy acc to vreg[133]
v_accvgpr_read_b32 v[vgprValuC+246], acc152 // copy acc to vreg[134]
v_accvgpr_read_b32 v[vgprValuC+247], acc156 // copy acc to vreg[135]
s_nop 1                                            // 2 wait states required before reading vgpr

/* rC *= alpha batchElements=[(0, 0, 0, 0), (0, 1, 0, 0), (0, 0, 1, 0), (0, 1, 1, 0), (0, 0, 2, 0), (0, 1, 2, 0), (0, 0, 3, 0), (0, 1, 3, 0), (0, 0, 4, 0), (0, 1, 4, 0), (0, 0, 5, 0), (0, 1, 5, 0), (0, 0, 6, 0), (0, 1, 6, 0), (0, 0, 7, 0), (0, 1, 7, 0), (0, 0, 8, 0), (0, 1, 8, 0), (0, 0, 9, 0), (0, 1, 9, 0), (0, 0, 10, 0), (0, 1, 10, 0), (0, 0, 11, 0), (0, 1, 11, 0), (0, 0, 12, 0), (0, 1, 12, 0), (0, 0, 13, 0), (0, 1, 13, 0), (0, 0, 14, 0), (0, 1, 14, 0), (0, 0, 15, 0), (0, 1, 15, 0), (1, 0, 0, 0), (1, 1, 0, 0)] */
v_mul_f32 v[vgprValuC+12], s[sgprAlpha], v[vgprValuC+12] // *= alpha
v_mul_f32 v[vgprValuC+13], s[sgprAlpha], v[vgprValuC+13] // *= alpha
	;; [unrolled: 1-line block ×136, first 2 shown]
s_waitcnt vmcnt(0)                                 // wait C

/* apply mask, calc new C and issue writes */
v_fma_mix_f32 v[vgprValuC+12], s[sgprBeta], v8, v[vgprValuC+12], op_sel:[0,0,0] op_sel_hi:[0,1,0] // //C*=beta
v_fma_mix_f32 v[vgprValuC+13], s[sgprBeta], v8, v[vgprValuC+13], op_sel:[0,1,0] op_sel_hi:[0,1,0] // //C*=beta
v_fma_mix_f32 v[vgprValuC+14], s[sgprBeta], v9, v[vgprValuC+14], op_sel:[0,0,0] op_sel_hi:[0,1,0] // //C*=beta
v_fma_mix_f32 v[vgprValuC+15], s[sgprBeta], v9, v[vgprValuC+15], op_sel:[0,1,0] op_sel_hi:[0,1,0] // //C*=beta
v_cvt_f16_f32 v[vgprValuC+12], v[vgprValuC+12]     // convert C to fp16
v_cvt_f16_f32 v[vgprValuC+13], v[vgprValuC+13]     // convert C to fp16
v_pack_b32_f16 v12, v[vgprValuC+12], v[vgprValuC+13] // Pack with neighbor
v_cvt_f16_f32 v[vgprValuC+14], v[vgprValuC+14]     // convert C to fp16
v_cvt_f16_f32 v[vgprValuC+15], v[vgprValuC+15]     // convert C to fp16
v_pack_b32_f16 v13, v[vgprValuC+14], v[vgprValuC+15] // Pack with neighbor
_buffer_store_b64 v[12:13], v6, s[sgprSrdD:sgprSrdD+3], 0, offen, offset:0,  sc0 sc1 // store D
v_fma_mix_f32 v[vgprValuC+16], s[sgprBeta], v10, v[vgprValuC+16], op_sel:[0,0,0] op_sel_hi:[0,1,0] // //C*=beta
v_fma_mix_f32 v[vgprValuC+17], s[sgprBeta], v10, v[vgprValuC+17], op_sel:[0,1,0] op_sel_hi:[0,1,0] // //C*=beta
v_fma_mix_f32 v[vgprValuC+18], s[sgprBeta], v11, v[vgprValuC+18], op_sel:[0,0,0] op_sel_hi:[0,1,0] // //C*=beta
v_fma_mix_f32 v[vgprValuC+19], s[sgprBeta], v11, v[vgprValuC+19], op_sel:[0,1,0] op_sel_hi:[0,1,0] // //C*=beta
v_cvt_f16_f32 v[vgprValuC+16], v[vgprValuC+16]     // convert C to fp16
v_cvt_f16_f32 v[vgprValuC+17], v[vgprValuC+17]     // convert C to fp16
v_pack_b32_f16 v16, v[vgprValuC+16], v[vgprValuC+17] // Pack with neighbor
v_cvt_f16_f32 v[vgprValuC+18], v[vgprValuC+18]     // convert C to fp16
v_cvt_f16_f32 v[vgprValuC+19], v[vgprValuC+19]     // convert C to fp16
v_pack_b32_f16 v17, v[vgprValuC+18], v[vgprValuC+19] // Pack with neighbor
_buffer_store_b64 v[16:17], v7, s[sgprSrdD:sgprSrdD+3], 0, offen, offset:0,  sc0 sc1 // store D
	;; [unrolled: 11-line block ×13, first 2 shown]
v_fma_mix_f32 v[vgprValuC+100], s[sgprBeta], v94, v[vgprValuC+100], op_sel:[0,0,0] op_sel_hi:[0,1,0] // //C*=beta
v_fma_mix_f32 v[vgprValuC+101], s[sgprBeta], v94, v[vgprValuC+101], op_sel:[0,1,0] op_sel_hi:[0,1,0] // //C*=beta
v_fma_mix_f32 v[vgprValuC+102], s[sgprBeta], v95, v[vgprValuC+102], op_sel:[0,0,0] op_sel_hi:[0,1,0] // //C*=beta
v_fma_mix_f32 v[vgprValuC+103], s[sgprBeta], v95, v[vgprValuC+103], op_sel:[0,1,0] op_sel_hi:[0,1,0] // //C*=beta
v_cvt_f16_f32 v[vgprValuC+100], v[vgprValuC+100]   // convert C to fp16
v_cvt_f16_f32 v[vgprValuC+101], v[vgprValuC+101]   // convert C to fp16
v_pack_b32_f16 v100, v[vgprValuC+100], v[vgprValuC+101] // Pack with neighbor
v_cvt_f16_f32 v[vgprValuC+102], v[vgprValuC+102]   // convert C to fp16
v_cvt_f16_f32 v[vgprValuC+103], v[vgprValuC+103]   // convert C to fp16
v_pack_b32_f16 v101, v[vgprValuC+102], v[vgprValuC+103] // Pack with neighbor
_buffer_store_b64 v[100:101], v87, s[sgprSrdD:sgprSrdD+3], 0, offen, offset:0,  sc0 sc1 // store D
v_fma_mix_f32 v[vgprValuC+108], s[sgprBeta], v106, v[vgprValuC+108], op_sel:[0,0,0] op_sel_hi:[0,1,0] // //C*=beta
v_fma_mix_f32 v[vgprValuC+109], s[sgprBeta], v106, v[vgprValuC+109], op_sel:[0,1,0] op_sel_hi:[0,1,0] // //C*=beta
v_fma_mix_f32 v[vgprValuC+110], s[sgprBeta], v107, v[vgprValuC+110], op_sel:[0,0,0] op_sel_hi:[0,1,0] // //C*=beta
v_fma_mix_f32 v[vgprValuC+111], s[sgprBeta], v107, v[vgprValuC+111], op_sel:[0,1,0] op_sel_hi:[0,1,0] // //C*=beta
v_cvt_f16_f32 v[vgprValuC+108], v[vgprValuC+108]   // convert C to fp16
v_cvt_f16_f32 v[vgprValuC+109], v[vgprValuC+109]   // convert C to fp16
v_pack_b32_f16 v108, v[vgprValuC+108], v[vgprValuC+109] // Pack with neighbor
v_cvt_f16_f32 v[vgprValuC+110], v[vgprValuC+110]   // convert C to fp16
v_cvt_f16_f32 v[vgprValuC+111], v[vgprValuC+111]   // convert C to fp16
v_pack_b32_f16 v109, v[vgprValuC+110], v[vgprValuC+111] // Pack with neighbor
_buffer_store_b64 v[108:109], v104, s[sgprSrdD:sgprSrdD+3], 0, offen, offset:0,  sc0 sc1 // store D
	;; [unrolled: 11-line block ×21, first 2 shown]
s_nop 0                                            // 1 wait state required when next inst writes vgprs held by previous dwordx4 store inst
/* optSingleColVgpr=0 optSharedColVgpr=0 optSGPRUsage=BufferLoad_Edge_Mask optSrdIncForRow=0 */

/******************************************/
/* Global Write Alpha Beta Edge Batch #1 (d1,d0,vc1,vc0) = */
/*    (1,0,1,0:vw4); (1,1,1,0:vw4); (1,0,2,0:vw4); (1,1,2,0:vw4); (1,0,3,0:vw4); (1,1,3,0:vw4); (1,0,4,0:vw4); (1,1,4,0:vw4); (1,0,5,0:vw4); (1,1,5,0:vw4); (1,0,6,0:vw4); (1,1,6,0:vw4); (1,0,7,0:vw4); (1,1,7,0:vw4); (1,0,8,0:vw4); (1,1,8,0:vw4); (1,0,9,0:vw4); (1,1,9,0:vw4); (1,0,10,0:vw4); (1,1,10,0:vw4); (1,0,11,0:vw4); (1,1,11,0:vw4); (1,0,12,0:vw4); (1,1,12,0:vw4); (1,0,13,0:vw4); (1,1,13,0:vw4); (1,0,14,0:vw4); (1,1,14,0:vw4); (1,0,15,0:vw4); (1,1,15,0:vw4) */
/******************************************/

/* calc coords, apply mask, and issue loads (if necessary) */
/* (d1,vc1,d0,vc0)=(1,1,0,0) */
_v_add_co_u32 v1, vcc, v1, 1                       // coord1.1: coord1Vgpr += d1*sg1*VW + vc1

/* Fix for UseInitialStridesCD, emitAddressSetupCode */
_v_add_u32 v2, v2, s[sgprStrideC1J]                // ROWINC- Move cinRowPtr to next row
_v_add_u32 v3, v3, s[sgprStrideD1J]                // Move coutRowPtr to next row
v_cmp_lt_u32 s[52:53], v0, s[sgprSizeI]            // coord0 < size0
v_cmp_lt_u32 s[56:57], v1, s[sgprSizeJ]            // coord1 < size1
s_and_b64 s[56:57], s[52:53], s[56:57]             // in0 && in1
_v_add_lshl_u32 v6, v2, v0, 0x1                    // scaleToBpe: accumulate d0 lower and *= bpe into Cin addr
v_cndmask_b32 v6, -1, v6, s[56:57]                 // LDC clip if OOB. offset
_buffer_load_b64 v[8:9], v6, s[sgprSrdC:sgprSrdC+3], 0, offen offset:0,  sc0 sc1 // load C for beta calc
_v_add_lshl_u32 v6, v3, v0, 0x1                    // scaleToBpe: accumulate d0 lower and *= bpe into Cin addr
v_cndmask_b32 v6, -1, v6, s[56:57]                 // LDD clip if OOB. offset
/* (d1,vc1,d0,vc0)=(1,1,1,0) */
s_mov_b32 s52, 128                                 // coordOffset0 d0=1 vc0=0
_v_add_co_u32 v4, vcc, v0, s52                     // coord0.2: coord0 += d0*sg0*VW + vc0
v_cmp_lt_u32 s[52:53], v4, s[sgprSizeI]            // coord0 < size0
v_cmp_lt_u32 s[56:57], v1, s[sgprSizeJ]            // coord1 < size1
s_and_b64 s[56:57], s[52:53], s[56:57]             // in0 && in1
_v_add_lshl_u32 v7, v2, v4, 0x1                    // scaleToBpe: accumulate d0 lower and *= bpe into Cin addr
v_cndmask_b32 v7, -1, v7, s[56:57]                 // LDC clip if OOB. offset
_buffer_load_b64 v[10:11], v7, s[sgprSrdC:sgprSrdC+3], 0, offen offset:0,  sc0 sc1 // load C for beta calc
_v_add_lshl_u32 v7, v3, v4, 0x1                    // scaleToBpe: accumulate d0 lower and *= bpe into Cin addr
v_cndmask_b32 v7, -1, v7, s[56:57]                 // LDD clip if OOB. offset
/* (d1,vc1,d0,vc0)=(1,2,0,0) */
_v_add_co_u32 v1, vcc, v1, 1                       // coord1.1: coord1Vgpr += d1*sg1*VW + vc1

/* Fix for UseInitialStridesCD, emitAddressSetupCode */
_v_add_u32 v2, v2, s[sgprStrideC1J]                // ROWINC- Move cinRowPtr to next row
_v_add_u32 v3, v3, s[sgprStrideD1J]                // Move coutRowPtr to next row
v_cmp_lt_u32 s[52:53], v0, s[sgprSizeI]            // coord0 < size0
v_cmp_lt_u32 s[56:57], v1, s[sgprSizeJ]            // coord1 < size1
s_and_b64 s[56:57], s[52:53], s[56:57]             // in0 && in1
_v_add_lshl_u32 v20, v2, v0, 0x1                   // scaleToBpe: accumulate d0 lower and *= bpe into Cin addr
v_cndmask_b32 v20, -1, v20, s[56:57]               // LDC clip if OOB. offset
_buffer_load_b64 v[22:23], v20, s[sgprSrdC:sgprSrdC+3], 0, offen offset:0,  sc0 sc1 // load C for beta calc
_v_add_lshl_u32 v20, v3, v0, 0x1                   // scaleToBpe: accumulate d0 lower and *= bpe into Cin addr
v_cndmask_b32 v20, -1, v20, s[56:57]               // LDD clip if OOB. offset
/* (d1,vc1,d0,vc0)=(1,2,1,0) */
s_mov_b32 s52, 128                                 // coordOffset0 d0=1 vc0=0
_v_add_co_u32 v4, vcc, v0, s52                     // coord0.2: coord0 += d0*sg0*VW + vc0
v_cmp_lt_u32 s[52:53], v4, s[sgprSizeI]            // coord0 < size0
v_cmp_lt_u32 s[56:57], v1, s[sgprSizeJ]            // coord1 < size1
s_and_b64 s[56:57], s[52:53], s[56:57]             // in0 && in1
_v_add_lshl_u32 v21, v2, v4, 0x1                   // scaleToBpe: accumulate d0 lower and *= bpe into Cin addr
v_cndmask_b32 v21, -1, v21, s[56:57]               // LDC clip if OOB. offset
_buffer_load_b64 v[28:29], v21, s[sgprSrdC:sgprSrdC+3], 0, offen offset:0,  sc0 sc1 // load C for beta calc
_v_add_lshl_u32 v21, v3, v4, 0x1                   // scaleToBpe: accumulate d0 lower and *= bpe into Cin addr
v_cndmask_b32 v21, -1, v21, s[56:57]               // LDD clip if OOB. offset
/* (d1,vc1,d0,vc0)=(1,3,0,0) */
_v_add_co_u32 v1, vcc, v1, 1                       // coord1.1: coord1Vgpr += d1*sg1*VW + vc1

/* Fix for UseInitialStridesCD, emitAddressSetupCode */
_v_add_u32 v2, v2, s[sgprStrideC1J]                // ROWINC- Move cinRowPtr to next row
_v_add_u32 v3, v3, s[sgprStrideD1J]                // Move coutRowPtr to next row
v_cmp_lt_u32 s[52:53], v0, s[sgprSizeI]            // coord0 < size0
v_cmp_lt_u32 s[56:57], v1, s[sgprSizeJ]            // coord1 < size1
s_and_b64 s[56:57], s[52:53], s[56:57]             // in0 && in1
_v_add_lshl_u32 v30, v2, v0, 0x1                   // scaleToBpe: accumulate d0 lower and *= bpe into Cin addr
v_cndmask_b32 v30, -1, v30, s[56:57]               // LDC clip if OOB. offset
_buffer_load_b64 v[36:37], v30, s[sgprSrdC:sgprSrdC+3], 0, offen offset:0,  sc0 sc1 // load C for beta calc
_v_add_lshl_u32 v30, v3, v0, 0x1                   // scaleToBpe: accumulate d0 lower and *= bpe into Cin addr
v_cndmask_b32 v30, -1, v30, s[56:57]               // LDD clip if OOB. offset
/* (d1,vc1,d0,vc0)=(1,3,1,0) */
s_mov_b32 s52, 128                                 // coordOffset0 d0=1 vc0=0
_v_add_co_u32 v4, vcc, v0, s52                     // coord0.2: coord0 += d0*sg0*VW + vc0
v_cmp_lt_u32 s[52:53], v4, s[sgprSizeI]            // coord0 < size0
v_cmp_lt_u32 s[56:57], v1, s[sgprSizeJ]            // coord1 < size1
s_and_b64 s[56:57], s[52:53], s[56:57]             // in0 && in1
_v_add_lshl_u32 v31, v2, v4, 0x1                   // scaleToBpe: accumulate d0 lower and *= bpe into Cin addr
v_cndmask_b32 v31, -1, v31, s[56:57]               // LDC clip if OOB. offset
_buffer_load_b64 v[38:39], v31, s[sgprSrdC:sgprSrdC+3], 0, offen offset:0,  sc0 sc1 // load C for beta calc
_v_add_lshl_u32 v31, v3, v4, 0x1                   // scaleToBpe: accumulate d0 lower and *= bpe into Cin addr
v_cndmask_b32 v31, -1, v31, s[56:57]               // LDD clip if OOB. offset
	;; [unrolled: 25-line block ×6, first 2 shown]
/* (d1,vc1,d0,vc0)=(1,8,0,0) */
_v_add_co_u32 v1, vcc, v1, 1                       // coord1.1: coord1Vgpr += d1*sg1*VW + vc1

/* Fix for UseInitialStridesCD, emitAddressSetupCode */
_v_add_u32 v2, v2, s[sgprStrideC1J]                // ROWINC- Move cinRowPtr to next row
_v_add_u32 v3, v3, s[sgprStrideD1J]                // Move coutRowPtr to next row
v_cmp_lt_u32 s[52:53], v0, s[sgprSizeI]            // coord0 < size0
v_cmp_lt_u32 s[56:57], v1, s[sgprSizeJ]            // coord1 < size1
s_and_b64 s[56:57], s[52:53], s[56:57]             // in0 && in1
_v_add_lshl_u32 v104, v2, v0, 0x1                  // scaleToBpe: accumulate d0 lower and *= bpe into Cin addr
v_cndmask_b32 v104, -1, v104, s[56:57]             // LDC clip if OOB. offset
_buffer_load_b64 v[106:107], v104, s[sgprSrdC:sgprSrdC+3], 0, offen offset:0,  sc0 sc1 // load C for beta calc
_v_add_lshl_u32 v104, v3, v0, 0x1                  // scaleToBpe: accumulate d0 lower and *= bpe into Cin addr
v_cndmask_b32 v104, -1, v104, s[56:57]             // LDD clip if OOB. offset
/* (d1,vc1,d0,vc0)=(1,8,1,0) */
s_mov_b32 s52, 128                                 // coordOffset0 d0=1 vc0=0
_v_add_co_u32 v4, vcc, v0, s52                     // coord0.2: coord0 += d0*sg0*VW + vc0
v_cmp_lt_u32 s[52:53], v4, s[sgprSizeI]            // coord0 < size0
v_cmp_lt_u32 s[56:57], v1, s[sgprSizeJ]            // coord1 < size1
s_and_b64 s[56:57], s[52:53], s[56:57]             // in0 && in1
_v_add_lshl_u32 v105, v2, v4, 0x1                  // scaleToBpe: accumulate d0 lower and *= bpe into Cin addr
v_cndmask_b32 v105, -1, v105, s[56:57]             // LDC clip if OOB. offset
_buffer_load_b64 v[112:113], v105, s[sgprSrdC:sgprSrdC+3], 0, offen offset:0,  sc0 sc1 // load C for beta calc
_v_add_lshl_u32 v105, v3, v4, 0x1                  // scaleToBpe: accumulate d0 lower and *= bpe into Cin addr
v_cndmask_b32 v105, -1, v105, s[56:57]             // LDD clip if OOB. offset
/* (d1,vc1,d0,vc0)=(1,9,0,0) */
_v_add_co_u32 v1, vcc, v1, 1                       // coord1.1: coord1Vgpr += d1*sg1*VW + vc1

/* Fix for UseInitialStridesCD, emitAddressSetupCode */
_v_add_u32 v2, v2, s[sgprStrideC1J]                // ROWINC- Move cinRowPtr to next row
_v_add_u32 v3, v3, s[sgprStrideD1J]                // Move coutRowPtr to next row
v_cmp_lt_u32 s[52:53], v0, s[sgprSizeI]            // coord0 < size0
v_cmp_lt_u32 s[56:57], v1, s[sgprSizeJ]            // coord1 < size1
s_and_b64 s[56:57], s[52:53], s[56:57]             // in0 && in1
_v_add_lshl_u32 v114, v2, v0, 0x1                  // scaleToBpe: accumulate d0 lower and *= bpe into Cin addr
v_cndmask_b32 v114, -1, v114, s[56:57]             // LDC clip if OOB. offset
_buffer_load_b64 v[120:121], v114, s[sgprSrdC:sgprSrdC+3], 0, offen offset:0,  sc0 sc1 // load C for beta calc
_v_add_lshl_u32 v114, v3, v0, 0x1                  // scaleToBpe: accumulate d0 lower and *= bpe into Cin addr
v_cndmask_b32 v114, -1, v114, s[56:57]             // LDD clip if OOB. offset
/* (d1,vc1,d0,vc0)=(1,9,1,0) */
s_mov_b32 s52, 128                                 // coordOffset0 d0=1 vc0=0
_v_add_co_u32 v4, vcc, v0, s52                     // coord0.2: coord0 += d0*sg0*VW + vc0
v_cmp_lt_u32 s[52:53], v4, s[sgprSizeI]            // coord0 < size0
v_cmp_lt_u32 s[56:57], v1, s[sgprSizeJ]            // coord1 < size1
s_and_b64 s[56:57], s[52:53], s[56:57]             // in0 && in1
_v_add_lshl_u32 v115, v2, v4, 0x1                  // scaleToBpe: accumulate d0 lower and *= bpe into Cin addr
v_cndmask_b32 v115, -1, v115, s[56:57]             // LDC clip if OOB. offset
_buffer_load_b64 v[122:123], v115, s[sgprSrdC:sgprSrdC+3], 0, offen offset:0,  sc0 sc1 // load C for beta calc
_v_add_lshl_u32 v115, v3, v4, 0x1                  // scaleToBpe: accumulate d0 lower and *= bpe into Cin addr
v_cndmask_b32 v115, -1, v115, s[56:57]             // LDD clip if OOB. offset
	;; [unrolled: 25-line block ×8, first 2 shown]
v_accvgpr_read_b32 v[vgprValuC+12], acc160 // copy acc to vreg[136]
v_accvgpr_read_b32 v[vgprValuC+13], acc164 // copy acc to vreg[137]
v_accvgpr_read_b32 v[vgprValuC+14], acc168 // copy acc to vreg[138]
v_accvgpr_read_b32 v[vgprValuC+15], acc172 // copy acc to vreg[139]
v_accvgpr_read_b32 v[vgprValuC+16], acc176 // copy acc to vreg[140]
v_accvgpr_read_b32 v[vgprValuC+17], acc180 // copy acc to vreg[141]
v_accvgpr_read_b32 v[vgprValuC+18], acc184 // copy acc to vreg[142]
v_accvgpr_read_b32 v[vgprValuC+19], acc188 // copy acc to vreg[143]
v_accvgpr_read_b32 v[vgprValuC+24], acc192 // copy acc to vreg[144]
v_accvgpr_read_b32 v[vgprValuC+25], acc196 // copy acc to vreg[145]
v_accvgpr_read_b32 v[vgprValuC+26], acc200 // copy acc to vreg[146]
v_accvgpr_read_b32 v[vgprValuC+27], acc204 // copy acc to vreg[147]
v_accvgpr_read_b32 v[vgprValuC+32], acc208 // copy acc to vreg[148]
v_accvgpr_read_b32 v[vgprValuC+33], acc212 // copy acc to vreg[149]
v_accvgpr_read_b32 v[vgprValuC+34], acc216 // copy acc to vreg[150]
v_accvgpr_read_b32 v[vgprValuC+35], acc220 // copy acc to vreg[151]
v_accvgpr_read_b32 v[vgprValuC+40], acc224 // copy acc to vreg[152]
v_accvgpr_read_b32 v[vgprValuC+41], acc228 // copy acc to vreg[153]
v_accvgpr_read_b32 v[vgprValuC+42], acc232 // copy acc to vreg[154]
v_accvgpr_read_b32 v[vgprValuC+43], acc236 // copy acc to vreg[155]
v_accvgpr_read_b32 v[vgprValuC+44], acc240 // copy acc to vreg[156]
v_accvgpr_read_b32 v[vgprValuC+45], acc244 // copy acc to vreg[157]
v_accvgpr_read_b32 v[vgprValuC+46], acc248 // copy acc to vreg[158]
v_accvgpr_read_b32 v[vgprValuC+47], acc252 // copy acc to vreg[159]
v_accvgpr_read_b32 v[vgprValuC+52], acc129 // copy acc to vreg[160]
v_accvgpr_read_b32 v[vgprValuC+53], acc133 // copy acc to vreg[161]
v_accvgpr_read_b32 v[vgprValuC+54], acc137 // copy acc to vreg[162]
v_accvgpr_read_b32 v[vgprValuC+55], acc141 // copy acc to vreg[163]
v_accvgpr_read_b32 v[vgprValuC+60], acc145 // copy acc to vreg[164]
v_accvgpr_read_b32 v[vgprValuC+61], acc149 // copy acc to vreg[165]
v_accvgpr_read_b32 v[vgprValuC+62], acc153 // copy acc to vreg[166]
v_accvgpr_read_b32 v[vgprValuC+63], acc157 // copy acc to vreg[167]
v_accvgpr_read_b32 v[vgprValuC+68], acc161 // copy acc to vreg[168]
v_accvgpr_read_b32 v[vgprValuC+69], acc165 // copy acc to vreg[169]
v_accvgpr_read_b32 v[vgprValuC+70], acc169 // copy acc to vreg[170]
v_accvgpr_read_b32 v[vgprValuC+71], acc173 // copy acc to vreg[171]
v_accvgpr_read_b32 v[vgprValuC+72], acc177 // copy acc to vreg[172]
v_accvgpr_read_b32 v[vgprValuC+73], acc181 // copy acc to vreg[173]
v_accvgpr_read_b32 v[vgprValuC+74], acc185 // copy acc to vreg[174]
v_accvgpr_read_b32 v[vgprValuC+75], acc189 // copy acc to vreg[175]
v_accvgpr_read_b32 v[vgprValuC+80], acc193 // copy acc to vreg[176]
v_accvgpr_read_b32 v[vgprValuC+81], acc197 // copy acc to vreg[177]
v_accvgpr_read_b32 v[vgprValuC+82], acc201 // copy acc to vreg[178]
v_accvgpr_read_b32 v[vgprValuC+83], acc205 // copy acc to vreg[179]
v_accvgpr_read_b32 v[vgprValuC+88], acc209 // copy acc to vreg[180]
v_accvgpr_read_b32 v[vgprValuC+89], acc213 // copy acc to vreg[181]
v_accvgpr_read_b32 v[vgprValuC+90], acc217 // copy acc to vreg[182]
v_accvgpr_read_b32 v[vgprValuC+91], acc221 // copy acc to vreg[183]
v_accvgpr_read_b32 v[vgprValuC+96], acc225 // copy acc to vreg[184]
v_accvgpr_read_b32 v[vgprValuC+97], acc229 // copy acc to vreg[185]
v_accvgpr_read_b32 v[vgprValuC+98], acc233 // copy acc to vreg[186]
v_accvgpr_read_b32 v[vgprValuC+99], acc237 // copy acc to vreg[187]
v_accvgpr_read_b32 v[vgprValuC+100], acc241 // copy acc to vreg[188]
v_accvgpr_read_b32 v[vgprValuC+101], acc245 // copy acc to vreg[189]
v_accvgpr_read_b32 v[vgprValuC+102], acc249 // copy acc to vreg[190]
v_accvgpr_read_b32 v[vgprValuC+103], acc253 // copy acc to vreg[191]
v_accvgpr_read_b32 v[vgprValuC+108], acc130 // copy acc to vreg[192]
v_accvgpr_read_b32 v[vgprValuC+109], acc134 // copy acc to vreg[193]
v_accvgpr_read_b32 v[vgprValuC+110], acc138 // copy acc to vreg[194]
v_accvgpr_read_b32 v[vgprValuC+111], acc142 // copy acc to vreg[195]
v_accvgpr_read_b32 v[vgprValuC+116], acc146 // copy acc to vreg[196]
v_accvgpr_read_b32 v[vgprValuC+117], acc150 // copy acc to vreg[197]
v_accvgpr_read_b32 v[vgprValuC+118], acc154 // copy acc to vreg[198]
v_accvgpr_read_b32 v[vgprValuC+119], acc158 // copy acc to vreg[199]
v_accvgpr_read_b32 v[vgprValuC+124], acc162 // copy acc to vreg[200]
v_accvgpr_read_b32 v[vgprValuC+125], acc166 // copy acc to vreg[201]
v_accvgpr_read_b32 v[vgprValuC+126], acc170 // copy acc to vreg[202]
v_accvgpr_read_b32 v[vgprValuC+127], acc174 // copy acc to vreg[203]
v_accvgpr_read_b32 v[vgprValuC+128], acc178 // copy acc to vreg[204]
v_accvgpr_read_b32 v[vgprValuC+129], acc182 // copy acc to vreg[205]
v_accvgpr_read_b32 v[vgprValuC+130], acc186 // copy acc to vreg[206]
v_accvgpr_read_b32 v[vgprValuC+131], acc190 // copy acc to vreg[207]
v_accvgpr_read_b32 v[vgprValuC+136], acc194 // copy acc to vreg[208]
v_accvgpr_read_b32 v[vgprValuC+137], acc198 // copy acc to vreg[209]
v_accvgpr_read_b32 v[vgprValuC+138], acc202 // copy acc to vreg[210]
v_accvgpr_read_b32 v[vgprValuC+139], acc206 // copy acc to vreg[211]
v_accvgpr_read_b32 v[vgprValuC+144], acc210 // copy acc to vreg[212]
v_accvgpr_read_b32 v[vgprValuC+145], acc214 // copy acc to vreg[213]
v_accvgpr_read_b32 v[vgprValuC+146], acc218 // copy acc to vreg[214]
v_accvgpr_read_b32 v[vgprValuC+147], acc222 // copy acc to vreg[215]
v_accvgpr_read_b32 v[vgprValuC+152], acc226 // copy acc to vreg[216]
v_accvgpr_read_b32 v[vgprValuC+153], acc230 // copy acc to vreg[217]
v_accvgpr_read_b32 v[vgprValuC+154], acc234 // copy acc to vreg[218]
v_accvgpr_read_b32 v[vgprValuC+155], acc238 // copy acc to vreg[219]
v_accvgpr_read_b32 v[vgprValuC+156], acc242 // copy acc to vreg[220]
v_accvgpr_read_b32 v[vgprValuC+157], acc246 // copy acc to vreg[221]
v_accvgpr_read_b32 v[vgprValuC+158], acc250 // copy acc to vreg[222]
v_accvgpr_read_b32 v[vgprValuC+159], acc254 // copy acc to vreg[223]
v_accvgpr_read_b32 v[vgprValuC+164], acc131 // copy acc to vreg[224]
v_accvgpr_read_b32 v[vgprValuC+165], acc135 // copy acc to vreg[225]
v_accvgpr_read_b32 v[vgprValuC+166], acc139 // copy acc to vreg[226]
v_accvgpr_read_b32 v[vgprValuC+167], acc143 // copy acc to vreg[227]
v_accvgpr_read_b32 v[vgprValuC+172], acc147 // copy acc to vreg[228]
v_accvgpr_read_b32 v[vgprValuC+173], acc151 // copy acc to vreg[229]
v_accvgpr_read_b32 v[vgprValuC+174], acc155 // copy acc to vreg[230]
v_accvgpr_read_b32 v[vgprValuC+175], acc159 // copy acc to vreg[231]
v_accvgpr_read_b32 v[vgprValuC+180], acc163 // copy acc to vreg[232]
v_accvgpr_read_b32 v[vgprValuC+181], acc167 // copy acc to vreg[233]
v_accvgpr_read_b32 v[vgprValuC+182], acc171 // copy acc to vreg[234]
v_accvgpr_read_b32 v[vgprValuC+183], acc175 // copy acc to vreg[235]
v_accvgpr_read_b32 v[vgprValuC+184], acc179 // copy acc to vreg[236]
v_accvgpr_read_b32 v[vgprValuC+185], acc183 // copy acc to vreg[237]
v_accvgpr_read_b32 v[vgprValuC+186], acc187 // copy acc to vreg[238]
v_accvgpr_read_b32 v[vgprValuC+187], acc191 // copy acc to vreg[239]
v_accvgpr_read_b32 v[vgprValuC+192], acc195 // copy acc to vreg[240]
v_accvgpr_read_b32 v[vgprValuC+193], acc199 // copy acc to vreg[241]
v_accvgpr_read_b32 v[vgprValuC+194], acc203 // copy acc to vreg[242]
v_accvgpr_read_b32 v[vgprValuC+195], acc207 // copy acc to vreg[243]
v_accvgpr_read_b32 v[vgprValuC+200], acc211 // copy acc to vreg[244]
v_accvgpr_read_b32 v[vgprValuC+201], acc215 // copy acc to vreg[245]
v_accvgpr_read_b32 v[vgprValuC+202], acc219 // copy acc to vreg[246]
v_accvgpr_read_b32 v[vgprValuC+203], acc223 // copy acc to vreg[247]
v_accvgpr_read_b32 v[vgprValuC+208], acc227 // copy acc to vreg[248]
v_accvgpr_read_b32 v[vgprValuC+209], acc231 // copy acc to vreg[249]
v_accvgpr_read_b32 v[vgprValuC+210], acc235 // copy acc to vreg[250]
v_accvgpr_read_b32 v[vgprValuC+211], acc239 // copy acc to vreg[251]
v_accvgpr_read_b32 v[vgprValuC+212], acc243 // copy acc to vreg[252]
v_accvgpr_read_b32 v[vgprValuC+213], acc247 // copy acc to vreg[253]
v_accvgpr_read_b32 v[vgprValuC+214], acc251 // copy acc to vreg[254]
v_accvgpr_read_b32 v[vgprValuC+215], acc255 // copy acc to vreg[255]
s_nop 1                                            // 2 wait states required before reading vgpr

/* rC *= alpha batchElements=[(1, 0, 1, 0), (1, 1, 1, 0), (1, 0, 2, 0), (1, 1, 2, 0), (1, 0, 3, 0), (1, 1, 3, 0), (1, 0, 4, 0), (1, 1, 4, 0), (1, 0, 5, 0), (1, 1, 5, 0), (1, 0, 6, 0), (1, 1, 6, 0), (1, 0, 7, 0), (1, 1, 7, 0), (1, 0, 8, 0), (1, 1, 8, 0), (1, 0, 9, 0), (1, 1, 9, 0), (1, 0, 10, 0), (1, 1, 10, 0), (1, 0, 11, 0), (1, 1, 11, 0), (1, 0, 12, 0), (1, 1, 12, 0), (1, 0, 13, 0), (1, 1, 13, 0), (1, 0, 14, 0), (1, 1, 14, 0), (1, 0, 15, 0), (1, 1, 15, 0)] */
v_mul_f32 v[vgprValuC+12], s[sgprAlpha], v[vgprValuC+12] // *= alpha
v_mul_f32 v[vgprValuC+13], s[sgprAlpha], v[vgprValuC+13] // *= alpha
	;; [unrolled: 1-line block ×120, first 2 shown]
s_waitcnt vmcnt(0)                                 // wait C

/* apply mask, calc new C and issue writes */
v_fma_mix_f32 v[vgprValuC+12], s[sgprBeta], v8, v[vgprValuC+12], op_sel:[0,0,0] op_sel_hi:[0,1,0] // //C*=beta
v_fma_mix_f32 v[vgprValuC+13], s[sgprBeta], v8, v[vgprValuC+13], op_sel:[0,1,0] op_sel_hi:[0,1,0] // //C*=beta
v_fma_mix_f32 v[vgprValuC+14], s[sgprBeta], v9, v[vgprValuC+14], op_sel:[0,0,0] op_sel_hi:[0,1,0] // //C*=beta
v_fma_mix_f32 v[vgprValuC+15], s[sgprBeta], v9, v[vgprValuC+15], op_sel:[0,1,0] op_sel_hi:[0,1,0] // //C*=beta
v_cvt_f16_f32 v[vgprValuC+12], v[vgprValuC+12]     // convert C to fp16
v_cvt_f16_f32 v[vgprValuC+13], v[vgprValuC+13]     // convert C to fp16
v_pack_b32_f16 v12, v[vgprValuC+12], v[vgprValuC+13] // Pack with neighbor
v_cvt_f16_f32 v[vgprValuC+14], v[vgprValuC+14]     // convert C to fp16
v_cvt_f16_f32 v[vgprValuC+15], v[vgprValuC+15]     // convert C to fp16
v_pack_b32_f16 v13, v[vgprValuC+14], v[vgprValuC+15] // Pack with neighbor
_buffer_store_b64 v[12:13], v6, s[sgprSrdD:sgprSrdD+3], 0, offen, offset:0,  sc0 sc1 // store D
v_fma_mix_f32 v[vgprValuC+16], s[sgprBeta], v10, v[vgprValuC+16], op_sel:[0,0,0] op_sel_hi:[0,1,0] // //C*=beta
v_fma_mix_f32 v[vgprValuC+17], s[sgprBeta], v10, v[vgprValuC+17], op_sel:[0,1,0] op_sel_hi:[0,1,0] // //C*=beta
v_fma_mix_f32 v[vgprValuC+18], s[sgprBeta], v11, v[vgprValuC+18], op_sel:[0,0,0] op_sel_hi:[0,1,0] // //C*=beta
v_fma_mix_f32 v[vgprValuC+19], s[sgprBeta], v11, v[vgprValuC+19], op_sel:[0,1,0] op_sel_hi:[0,1,0] // //C*=beta
v_cvt_f16_f32 v[vgprValuC+16], v[vgprValuC+16]     // convert C to fp16
v_cvt_f16_f32 v[vgprValuC+17], v[vgprValuC+17]     // convert C to fp16
v_pack_b32_f16 v16, v[vgprValuC+16], v[vgprValuC+17] // Pack with neighbor
v_cvt_f16_f32 v[vgprValuC+18], v[vgprValuC+18]     // convert C to fp16
v_cvt_f16_f32 v[vgprValuC+19], v[vgprValuC+19]     // convert C to fp16
v_pack_b32_f16 v17, v[vgprValuC+18], v[vgprValuC+19] // Pack with neighbor
_buffer_store_b64 v[16:17], v7, s[sgprSrdD:sgprSrdD+3], 0, offen, offset:0,  sc0 sc1 // store D
v_fma_mix_f32 v[vgprValuC+24], s[sgprBeta], v22, v[vgprValuC+24], op_sel:[0,0,0] op_sel_hi:[0,1,0] // //C*=beta
v_fma_mix_f32 v[vgprValuC+25], s[sgprBeta], v22, v[vgprValuC+25], op_sel:[0,1,0] op_sel_hi:[0,1,0] // //C*=beta
v_fma_mix_f32 v[vgprValuC+26], s[sgprBeta], v23, v[vgprValuC+26], op_sel:[0,0,0] op_sel_hi:[0,1,0] // //C*=beta
v_fma_mix_f32 v[vgprValuC+27], s[sgprBeta], v23, v[vgprValuC+27], op_sel:[0,1,0] op_sel_hi:[0,1,0] // //C*=beta
v_cvt_f16_f32 v[vgprValuC+24], v[vgprValuC+24]     // convert C to fp16
v_cvt_f16_f32 v[vgprValuC+25], v[vgprValuC+25]     // convert C to fp16
v_pack_b32_f16 v24, v[vgprValuC+24], v[vgprValuC+25] // Pack with neighbor
v_cvt_f16_f32 v[vgprValuC+26], v[vgprValuC+26]     // convert C to fp16
v_cvt_f16_f32 v[vgprValuC+27], v[vgprValuC+27]     // convert C to fp16
v_pack_b32_f16 v25, v[vgprValuC+26], v[vgprValuC+27] // Pack with neighbor
_buffer_store_b64 v[24:25], v20, s[sgprSrdD:sgprSrdD+3], 0, offen, offset:0,  sc0 sc1 // store D
v_fma_mix_f32 v[vgprValuC+32], s[sgprBeta], v28, v[vgprValuC+32], op_sel:[0,0,0] op_sel_hi:[0,1,0] // //C*=beta
v_fma_mix_f32 v[vgprValuC+33], s[sgprBeta], v28, v[vgprValuC+33], op_sel:[0,1,0] op_sel_hi:[0,1,0] // //C*=beta
v_fma_mix_f32 v[vgprValuC+34], s[sgprBeta], v29, v[vgprValuC+34], op_sel:[0,0,0] op_sel_hi:[0,1,0] // //C*=beta
v_fma_mix_f32 v[vgprValuC+35], s[sgprBeta], v29, v[vgprValuC+35], op_sel:[0,1,0] op_sel_hi:[0,1,0] // //C*=beta
v_cvt_f16_f32 v[vgprValuC+32], v[vgprValuC+32]     // convert C to fp16
v_cvt_f16_f32 v[vgprValuC+33], v[vgprValuC+33]     // convert C to fp16
v_pack_b32_f16 v32, v[vgprValuC+32], v[vgprValuC+33] // Pack with neighbor
v_cvt_f16_f32 v[vgprValuC+34], v[vgprValuC+34]     // convert C to fp16
v_cvt_f16_f32 v[vgprValuC+35], v[vgprValuC+35]     // convert C to fp16
v_pack_b32_f16 v33, v[vgprValuC+34], v[vgprValuC+35] // Pack with neighbor
_buffer_store_b64 v[32:33], v21, s[sgprSrdD:sgprSrdD+3], 0, offen, offset:0,  sc0 sc1 // store D
v_fma_mix_f32 v[vgprValuC+40], s[sgprBeta], v36, v[vgprValuC+40], op_sel:[0,0,0] op_sel_hi:[0,1,0] // //C*=beta
v_fma_mix_f32 v[vgprValuC+41], s[sgprBeta], v36, v[vgprValuC+41], op_sel:[0,1,0] op_sel_hi:[0,1,0] // //C*=beta
v_fma_mix_f32 v[vgprValuC+42], s[sgprBeta], v37, v[vgprValuC+42], op_sel:[0,0,0] op_sel_hi:[0,1,0] // //C*=beta
v_fma_mix_f32 v[vgprValuC+43], s[sgprBeta], v37, v[vgprValuC+43], op_sel:[0,1,0] op_sel_hi:[0,1,0] // //C*=beta
v_cvt_f16_f32 v[vgprValuC+40], v[vgprValuC+40]     // convert C to fp16
v_cvt_f16_f32 v[vgprValuC+41], v[vgprValuC+41]     // convert C to fp16
v_pack_b32_f16 v40, v[vgprValuC+40], v[vgprValuC+41] // Pack with neighbor
v_cvt_f16_f32 v[vgprValuC+42], v[vgprValuC+42]     // convert C to fp16
v_cvt_f16_f32 v[vgprValuC+43], v[vgprValuC+43]     // convert C to fp16
v_pack_b32_f16 v41, v[vgprValuC+42], v[vgprValuC+43] // Pack with neighbor
_buffer_store_b64 v[40:41], v30, s[sgprSrdD:sgprSrdD+3], 0, offen, offset:0,  sc0 sc1 // store D
v_fma_mix_f32 v[vgprValuC+44], s[sgprBeta], v38, v[vgprValuC+44], op_sel:[0,0,0] op_sel_hi:[0,1,0] // //C*=beta
v_fma_mix_f32 v[vgprValuC+45], s[sgprBeta], v38, v[vgprValuC+45], op_sel:[0,1,0] op_sel_hi:[0,1,0] // //C*=beta
v_fma_mix_f32 v[vgprValuC+46], s[sgprBeta], v39, v[vgprValuC+46], op_sel:[0,0,0] op_sel_hi:[0,1,0] // //C*=beta
v_fma_mix_f32 v[vgprValuC+47], s[sgprBeta], v39, v[vgprValuC+47], op_sel:[0,1,0] op_sel_hi:[0,1,0] // //C*=beta
v_cvt_f16_f32 v[vgprValuC+44], v[vgprValuC+44]     // convert C to fp16
v_cvt_f16_f32 v[vgprValuC+45], v[vgprValuC+45]     // convert C to fp16
v_pack_b32_f16 v44, v[vgprValuC+44], v[vgprValuC+45] // Pack with neighbor
v_cvt_f16_f32 v[vgprValuC+46], v[vgprValuC+46]     // convert C to fp16
v_cvt_f16_f32 v[vgprValuC+47], v[vgprValuC+47]     // convert C to fp16
v_pack_b32_f16 v45, v[vgprValuC+46], v[vgprValuC+47] // Pack with neighbor
_buffer_store_b64 v[44:45], v31, s[sgprSrdD:sgprSrdD+3], 0, offen, offset:0,  sc0 sc1 // store D
v_fma_mix_f32 v[vgprValuC+52], s[sgprBeta], v50, v[vgprValuC+52], op_sel:[0,0,0] op_sel_hi:[0,1,0] // //C*=beta
v_fma_mix_f32 v[vgprValuC+53], s[sgprBeta], v50, v[vgprValuC+53], op_sel:[0,1,0] op_sel_hi:[0,1,0] // //C*=beta
v_fma_mix_f32 v[vgprValuC+54], s[sgprBeta], v51, v[vgprValuC+54], op_sel:[0,0,0] op_sel_hi:[0,1,0] // //C*=beta
v_fma_mix_f32 v[vgprValuC+55], s[sgprBeta], v51, v[vgprValuC+55], op_sel:[0,1,0] op_sel_hi:[0,1,0] // //C*=beta
v_cvt_f16_f32 v[vgprValuC+52], v[vgprValuC+52]     // convert C to fp16
v_cvt_f16_f32 v[vgprValuC+53], v[vgprValuC+53]     // convert C to fp16
v_pack_b32_f16 v52, v[vgprValuC+52], v[vgprValuC+53] // Pack with neighbor
v_cvt_f16_f32 v[vgprValuC+54], v[vgprValuC+54]     // convert C to fp16
v_cvt_f16_f32 v[vgprValuC+55], v[vgprValuC+55]     // convert C to fp16
v_pack_b32_f16 v53, v[vgprValuC+54], v[vgprValuC+55] // Pack with neighbor
_buffer_store_b64 v[52:53], v48, s[sgprSrdD:sgprSrdD+3], 0, offen, offset:0,  sc0 sc1 // store D
v_fma_mix_f32 v[vgprValuC+60], s[sgprBeta], v56, v[vgprValuC+60], op_sel:[0,0,0] op_sel_hi:[0,1,0] // //C*=beta
v_fma_mix_f32 v[vgprValuC+61], s[sgprBeta], v56, v[vgprValuC+61], op_sel:[0,1,0] op_sel_hi:[0,1,0] // //C*=beta
v_fma_mix_f32 v[vgprValuC+62], s[sgprBeta], v57, v[vgprValuC+62], op_sel:[0,0,0] op_sel_hi:[0,1,0] // //C*=beta
v_fma_mix_f32 v[vgprValuC+63], s[sgprBeta], v57, v[vgprValuC+63], op_sel:[0,1,0] op_sel_hi:[0,1,0] // //C*=beta
v_cvt_f16_f32 v[vgprValuC+60], v[vgprValuC+60]     // convert C to fp16
v_cvt_f16_f32 v[vgprValuC+61], v[vgprValuC+61]     // convert C to fp16
v_pack_b32_f16 v60, v[vgprValuC+60], v[vgprValuC+61] // Pack with neighbor
v_cvt_f16_f32 v[vgprValuC+62], v[vgprValuC+62]     // convert C to fp16
v_cvt_f16_f32 v[vgprValuC+63], v[vgprValuC+63]     // convert C to fp16
v_pack_b32_f16 v61, v[vgprValuC+62], v[vgprValuC+63] // Pack with neighbor
_buffer_store_b64 v[60:61], v49, s[sgprSrdD:sgprSrdD+3], 0, offen, offset:0,  sc0 sc1 // store D
v_fma_mix_f32 v[vgprValuC+68], s[sgprBeta], v64, v[vgprValuC+68], op_sel:[0,0,0] op_sel_hi:[0,1,0] // //C*=beta
v_fma_mix_f32 v[vgprValuC+69], s[sgprBeta], v64, v[vgprValuC+69], op_sel:[0,1,0] op_sel_hi:[0,1,0] // //C*=beta
v_fma_mix_f32 v[vgprValuC+70], s[sgprBeta], v65, v[vgprValuC+70], op_sel:[0,0,0] op_sel_hi:[0,1,0] // //C*=beta
v_fma_mix_f32 v[vgprValuC+71], s[sgprBeta], v65, v[vgprValuC+71], op_sel:[0,1,0] op_sel_hi:[0,1,0] // //C*=beta
v_cvt_f16_f32 v[vgprValuC+68], v[vgprValuC+68]     // convert C to fp16
v_cvt_f16_f32 v[vgprValuC+69], v[vgprValuC+69]     // convert C to fp16
v_pack_b32_f16 v68, v[vgprValuC+68], v[vgprValuC+69] // Pack with neighbor
v_cvt_f16_f32 v[vgprValuC+70], v[vgprValuC+70]     // convert C to fp16
v_cvt_f16_f32 v[vgprValuC+71], v[vgprValuC+71]     // convert C to fp16
v_pack_b32_f16 v69, v[vgprValuC+70], v[vgprValuC+71] // Pack with neighbor
_buffer_store_b64 v[68:69], v58, s[sgprSrdD:sgprSrdD+3], 0, offen, offset:0,  sc0 sc1 // store D
v_fma_mix_f32 v[vgprValuC+72], s[sgprBeta], v66, v[vgprValuC+72], op_sel:[0,0,0] op_sel_hi:[0,1,0] // //C*=beta
v_fma_mix_f32 v[vgprValuC+73], s[sgprBeta], v66, v[vgprValuC+73], op_sel:[0,1,0] op_sel_hi:[0,1,0] // //C*=beta
v_fma_mix_f32 v[vgprValuC+74], s[sgprBeta], v67, v[vgprValuC+74], op_sel:[0,0,0] op_sel_hi:[0,1,0] // //C*=beta
v_fma_mix_f32 v[vgprValuC+75], s[sgprBeta], v67, v[vgprValuC+75], op_sel:[0,1,0] op_sel_hi:[0,1,0] // //C*=beta
v_cvt_f16_f32 v[vgprValuC+72], v[vgprValuC+72]     // convert C to fp16
v_cvt_f16_f32 v[vgprValuC+73], v[vgprValuC+73]     // convert C to fp16
v_pack_b32_f16 v72, v[vgprValuC+72], v[vgprValuC+73] // Pack with neighbor
v_cvt_f16_f32 v[vgprValuC+74], v[vgprValuC+74]     // convert C to fp16
v_cvt_f16_f32 v[vgprValuC+75], v[vgprValuC+75]     // convert C to fp16
v_pack_b32_f16 v73, v[vgprValuC+74], v[vgprValuC+75] // Pack with neighbor
_buffer_store_b64 v[72:73], v59, s[sgprSrdD:sgprSrdD+3], 0, offen, offset:0,  sc0 sc1 // store D
v_fma_mix_f32 v[vgprValuC+80], s[sgprBeta], v78, v[vgprValuC+80], op_sel:[0,0,0] op_sel_hi:[0,1,0] // //C*=beta
v_fma_mix_f32 v[vgprValuC+81], s[sgprBeta], v78, v[vgprValuC+81], op_sel:[0,1,0] op_sel_hi:[0,1,0] // //C*=beta
v_fma_mix_f32 v[vgprValuC+82], s[sgprBeta], v79, v[vgprValuC+82], op_sel:[0,0,0] op_sel_hi:[0,1,0] // //C*=beta
v_fma_mix_f32 v[vgprValuC+83], s[sgprBeta], v79, v[vgprValuC+83], op_sel:[0,1,0] op_sel_hi:[0,1,0] // //C*=beta
v_cvt_f16_f32 v[vgprValuC+80], v[vgprValuC+80]     // convert C to fp16
v_cvt_f16_f32 v[vgprValuC+81], v[vgprValuC+81]     // convert C to fp16
v_pack_b32_f16 v80, v[vgprValuC+80], v[vgprValuC+81] // Pack with neighbor
v_cvt_f16_f32 v[vgprValuC+82], v[vgprValuC+82]     // convert C to fp16
v_cvt_f16_f32 v[vgprValuC+83], v[vgprValuC+83]     // convert C to fp16
v_pack_b32_f16 v81, v[vgprValuC+82], v[vgprValuC+83] // Pack with neighbor
_buffer_store_b64 v[80:81], v76, s[sgprSrdD:sgprSrdD+3], 0, offen, offset:0,  sc0 sc1 // store D
v_fma_mix_f32 v[vgprValuC+88], s[sgprBeta], v84, v[vgprValuC+88], op_sel:[0,0,0] op_sel_hi:[0,1,0] // //C*=beta
v_fma_mix_f32 v[vgprValuC+89], s[sgprBeta], v84, v[vgprValuC+89], op_sel:[0,1,0] op_sel_hi:[0,1,0] // //C*=beta
v_fma_mix_f32 v[vgprValuC+90], s[sgprBeta], v85, v[vgprValuC+90], op_sel:[0,0,0] op_sel_hi:[0,1,0] // //C*=beta
v_fma_mix_f32 v[vgprValuC+91], s[sgprBeta], v85, v[vgprValuC+91], op_sel:[0,1,0] op_sel_hi:[0,1,0] // //C*=beta
v_cvt_f16_f32 v[vgprValuC+88], v[vgprValuC+88]     // convert C to fp16
v_cvt_f16_f32 v[vgprValuC+89], v[vgprValuC+89]     // convert C to fp16
v_pack_b32_f16 v88, v[vgprValuC+88], v[vgprValuC+89] // Pack with neighbor
v_cvt_f16_f32 v[vgprValuC+90], v[vgprValuC+90]     // convert C to fp16
v_cvt_f16_f32 v[vgprValuC+91], v[vgprValuC+91]     // convert C to fp16
v_pack_b32_f16 v89, v[vgprValuC+90], v[vgprValuC+91] // Pack with neighbor
_buffer_store_b64 v[88:89], v77, s[sgprSrdD:sgprSrdD+3], 0, offen, offset:0,  sc0 sc1 // store D
v_fma_mix_f32 v[vgprValuC+96], s[sgprBeta], v92, v[vgprValuC+96], op_sel:[0,0,0] op_sel_hi:[0,1,0] // //C*=beta
v_fma_mix_f32 v[vgprValuC+97], s[sgprBeta], v92, v[vgprValuC+97], op_sel:[0,1,0] op_sel_hi:[0,1,0] // //C*=beta
v_fma_mix_f32 v[vgprValuC+98], s[sgprBeta], v93, v[vgprValuC+98], op_sel:[0,0,0] op_sel_hi:[0,1,0] // //C*=beta
v_fma_mix_f32 v[vgprValuC+99], s[sgprBeta], v93, v[vgprValuC+99], op_sel:[0,1,0] op_sel_hi:[0,1,0] // //C*=beta
v_cvt_f16_f32 v[vgprValuC+96], v[vgprValuC+96]     // convert C to fp16
v_cvt_f16_f32 v[vgprValuC+97], v[vgprValuC+97]     // convert C to fp16
v_pack_b32_f16 v96, v[vgprValuC+96], v[vgprValuC+97] // Pack with neighbor
v_cvt_f16_f32 v[vgprValuC+98], v[vgprValuC+98]     // convert C to fp16
v_cvt_f16_f32 v[vgprValuC+99], v[vgprValuC+99]     // convert C to fp16
v_pack_b32_f16 v97, v[vgprValuC+98], v[vgprValuC+99] // Pack with neighbor
_buffer_store_b64 v[96:97], v86, s[sgprSrdD:sgprSrdD+3], 0, offen, offset:0,  sc0 sc1 // store D
v_fma_mix_f32 v[vgprValuC+100], s[sgprBeta], v94, v[vgprValuC+100], op_sel:[0,0,0] op_sel_hi:[0,1,0] // //C*=beta
v_fma_mix_f32 v[vgprValuC+101], s[sgprBeta], v94, v[vgprValuC+101], op_sel:[0,1,0] op_sel_hi:[0,1,0] // //C*=beta
v_fma_mix_f32 v[vgprValuC+102], s[sgprBeta], v95, v[vgprValuC+102], op_sel:[0,0,0] op_sel_hi:[0,1,0] // //C*=beta
v_fma_mix_f32 v[vgprValuC+103], s[sgprBeta], v95, v[vgprValuC+103], op_sel:[0,1,0] op_sel_hi:[0,1,0] // //C*=beta
v_cvt_f16_f32 v[vgprValuC+100], v[vgprValuC+100]   // convert C to fp16
v_cvt_f16_f32 v[vgprValuC+101], v[vgprValuC+101]   // convert C to fp16
v_pack_b32_f16 v100, v[vgprValuC+100], v[vgprValuC+101] // Pack with neighbor
v_cvt_f16_f32 v[vgprValuC+102], v[vgprValuC+102]   // convert C to fp16
v_cvt_f16_f32 v[vgprValuC+103], v[vgprValuC+103]   // convert C to fp16
v_pack_b32_f16 v101, v[vgprValuC+102], v[vgprValuC+103] // Pack with neighbor
_buffer_store_b64 v[100:101], v87, s[sgprSrdD:sgprSrdD+3], 0, offen, offset:0,  sc0 sc1 // store D
v_fma_mix_f32 v[vgprValuC+108], s[sgprBeta], v106, v[vgprValuC+108], op_sel:[0,0,0] op_sel_hi:[0,1,0] // //C*=beta
v_fma_mix_f32 v[vgprValuC+109], s[sgprBeta], v106, v[vgprValuC+109], op_sel:[0,1,0] op_sel_hi:[0,1,0] // //C*=beta
v_fma_mix_f32 v[vgprValuC+110], s[sgprBeta], v107, v[vgprValuC+110], op_sel:[0,0,0] op_sel_hi:[0,1,0] // //C*=beta
v_fma_mix_f32 v[vgprValuC+111], s[sgprBeta], v107, v[vgprValuC+111], op_sel:[0,1,0] op_sel_hi:[0,1,0] // //C*=beta
v_cvt_f16_f32 v[vgprValuC+108], v[vgprValuC+108]   // convert C to fp16
v_cvt_f16_f32 v[vgprValuC+109], v[vgprValuC+109]   // convert C to fp16
v_pack_b32_f16 v108, v[vgprValuC+108], v[vgprValuC+109] // Pack with neighbor
v_cvt_f16_f32 v[vgprValuC+110], v[vgprValuC+110]   // convert C to fp16
v_cvt_f16_f32 v[vgprValuC+111], v[vgprValuC+111]   // convert C to fp16
v_pack_b32_f16 v109, v[vgprValuC+110], v[vgprValuC+111] // Pack with neighbor
_buffer_store_b64 v[108:109], v104, s[sgprSrdD:sgprSrdD+3], 0, offen, offset:0,  sc0 sc1 // store D
	;; [unrolled: 11-line block ×17, first 2 shown]
s_nop 0                                            // 1 wait state required when next inst writes vgprs held by previous dwordx4 store inst
s_branch label_GW_End_48                           // jump to end
label_GW_End_48:

label_0053:  /// KernelEnd
s_endpgm                                           // Kernel End

